;; amdgpu-corpus repo=ROCm/rocFFT kind=compiled arch=gfx1201 opt=O3
	.text
	.amdgcn_target "amdgcn-amd-amdhsa--gfx1201"
	.amdhsa_code_object_version 6
	.protected	bluestein_single_back_len561_dim1_half_op_CI_CI ; -- Begin function bluestein_single_back_len561_dim1_half_op_CI_CI
	.globl	bluestein_single_back_len561_dim1_half_op_CI_CI
	.p2align	8
	.type	bluestein_single_back_len561_dim1_half_op_CI_CI,@function
bluestein_single_back_len561_dim1_half_op_CI_CI: ; @bluestein_single_back_len561_dim1_half_op_CI_CI
; %bb.0:
	s_load_b128 s[8:11], s[0:1], 0x28
	v_mul_u32_u24_e32 v1, 0x506, v0
	s_mov_b32 s2, exec_lo
	s_delay_alu instid0(VALU_DEP_1) | instskip(NEXT) | instid1(VALU_DEP_1)
	v_lshrrev_b32_e32 v1, 16, v1
	v_mad_co_u64_u32 v[8:9], null, ttmp9, 5, v[1:2]
	v_mov_b32_e32 v9, 0
                                        ; kill: def $vgpr2 killed $sgpr0 killed $exec
	s_wait_kmcnt 0x0
	s_delay_alu instid0(VALU_DEP_1)
	v_cmpx_gt_u64_e64 s[8:9], v[8:9]
	s_cbranch_execz .LBB0_23
; %bb.1:
	v_mul_hi_u32 v2, 0xcccccccd, v8
	s_clause 0x1
	s_load_b64 s[8:9], s[0:1], 0x0
	s_load_b64 s[12:13], s[0:1], 0x38
	v_mul_lo_u16 v1, v1, 51
	s_delay_alu instid0(VALU_DEP_1) | instskip(NEXT) | instid1(VALU_DEP_3)
	v_sub_nc_u16 v0, v0, v1
	v_lshrrev_b32_e32 v2, 2, v2
	s_delay_alu instid0(VALU_DEP_2) | instskip(NEXT) | instid1(VALU_DEP_2)
	v_and_b32_e32 v38, 0xffff, v0
	v_lshl_add_u32 v2, v2, 2, v2
	v_cmp_gt_u16_e32 vcc_lo, 33, v0
	s_delay_alu instid0(VALU_DEP_3) | instskip(NEXT) | instid1(VALU_DEP_3)
	v_lshlrev_b32_e32 v37, 2, v38
	v_sub_nc_u32_e32 v1, v8, v2
	s_delay_alu instid0(VALU_DEP_1) | instskip(NEXT) | instid1(VALU_DEP_1)
	v_mul_u32_u24_e32 v25, 0x231, v1
	v_lshlrev_b32_e32 v39, 2, v25
	s_and_saveexec_b32 s3, vcc_lo
	s_cbranch_execz .LBB0_3
; %bb.2:
	s_load_b64 s[4:5], s[0:1], 0x18
	s_wait_kmcnt 0x0
	s_load_b128 s[4:7], s[4:5], 0x0
	s_wait_kmcnt 0x0
	v_mad_co_u64_u32 v[0:1], null, s6, v8, 0
	v_mad_co_u64_u32 v[2:3], null, s4, v38, 0
	s_delay_alu instid0(VALU_DEP_1) | instskip(NEXT) | instid1(VALU_DEP_1)
	v_mad_co_u64_u32 v[4:5], null, s7, v8, v[1:2]
	v_mad_co_u64_u32 v[5:6], null, s5, v38, v[3:4]
	v_mov_b32_e32 v1, v4
	s_mul_u64 s[4:5], s[4:5], 0x84
	s_delay_alu instid0(VALU_DEP_1) | instskip(NEXT) | instid1(VALU_DEP_3)
	v_lshlrev_b64_e32 v[0:1], 2, v[0:1]
	v_mov_b32_e32 v3, v5
	s_clause 0xe
	global_load_b32 v4, v37, s[8:9]
	global_load_b32 v5, v37, s[8:9] offset:132
	global_load_b32 v6, v37, s[8:9] offset:264
	;; [unrolled: 1-line block ×14, first 2 shown]
	v_lshlrev_b64_e32 v[2:3], 2, v[2:3]
	v_add_co_u32 v0, s2, s10, v0
	s_delay_alu instid0(VALU_DEP_1) | instskip(NEXT) | instid1(VALU_DEP_2)
	v_add_co_ci_u32_e64 v1, s2, s11, v1, s2
	v_add_co_u32 v0, s2, v0, v2
	s_wait_alu 0xf1ff
	s_delay_alu instid0(VALU_DEP_2) | instskip(SKIP_1) | instid1(VALU_DEP_2)
	v_add_co_ci_u32_e64 v1, s2, v1, v3, s2
	s_wait_alu 0xfffe
	v_add_co_u32 v2, s2, v0, s4
	s_wait_alu 0xf1ff
	s_delay_alu instid0(VALU_DEP_2)
	v_add_co_ci_u32_e64 v3, s2, s5, v1, s2
	global_load_b32 v20, v[0:1], off
	v_add_co_u32 v0, s2, v2, s4
	s_wait_alu 0xf1ff
	v_add_co_ci_u32_e64 v1, s2, s5, v3, s2
	global_load_b32 v21, v37, s[8:9] offset:1980
	global_load_b32 v22, v[2:3], off
	global_load_b32 v23, v37, s[8:9] offset:2112
	global_load_b32 v24, v[0:1], off
	v_add_co_u32 v0, s2, v0, s4
	s_wait_alu 0xf1ff
	v_add_co_ci_u32_e64 v1, s2, s5, v1, s2
	s_delay_alu instid0(VALU_DEP_2) | instskip(SKIP_1) | instid1(VALU_DEP_2)
	v_add_co_u32 v2, s2, v0, s4
	s_wait_alu 0xf1ff
	v_add_co_ci_u32_e64 v3, s2, s5, v1, s2
	s_clause 0x1
	global_load_b32 v26, v[0:1], off
	global_load_b32 v27, v[2:3], off
	v_add_co_u32 v0, s2, v2, s4
	s_wait_alu 0xf1ff
	v_add_co_ci_u32_e64 v1, s2, s5, v3, s2
	s_delay_alu instid0(VALU_DEP_2) | instskip(SKIP_1) | instid1(VALU_DEP_2)
	v_add_co_u32 v2, s2, v0, s4
	s_wait_alu 0xf1ff
	v_add_co_ci_u32_e64 v3, s2, s5, v1, s2
	global_load_b32 v28, v[0:1], off
	v_add_co_u32 v0, s2, v2, s4
	s_wait_alu 0xf1ff
	v_add_co_ci_u32_e64 v1, s2, s5, v3, s2
	global_load_b32 v29, v[2:3], off
	global_load_b32 v30, v[0:1], off
	v_add_co_u32 v0, s2, v0, s4
	s_wait_alu 0xf1ff
	v_add_co_ci_u32_e64 v1, s2, s5, v1, s2
	s_delay_alu instid0(VALU_DEP_2) | instskip(SKIP_1) | instid1(VALU_DEP_2)
	v_add_co_u32 v2, s2, v0, s4
	s_wait_alu 0xf1ff
	v_add_co_ci_u32_e64 v3, s2, s5, v1, s2
	global_load_b32 v31, v[0:1], off
	v_add_co_u32 v0, s2, v2, s4
	s_wait_alu 0xf1ff
	v_add_co_ci_u32_e64 v1, s2, s5, v3, s2
	;; [unrolled: 13-line block ×3, first 2 shown]
	global_load_b32 v35, v[2:3], off
	v_add_co_u32 v2, s2, v0, s4
	s_wait_alu 0xf1ff
	v_add_co_ci_u32_e64 v3, s2, s5, v1, s2
	global_load_b32 v36, v[0:1], off
	v_add_co_u32 v0, s2, v2, s4
	s_wait_alu 0xf1ff
	v_add_co_ci_u32_e64 v1, s2, s5, v3, s2
	;; [unrolled: 4-line block ×3, first 2 shown]
	global_load_b32 v0, v[0:1], off
	global_load_b32 v1, v[2:3], off
	v_lshl_add_u32 v3, v38, 2, v39
	v_add_nc_u32_e32 v2, v39, v37
	s_delay_alu instid0(VALU_DEP_1)
	v_add_nc_u32_e32 v42, 0x400, v2
	v_add_nc_u32_e32 v41, 0x200, v2
	s_wait_loadcnt 0x21
	v_lshrrev_b32_e32 v43, 16, v4
	s_wait_loadcnt 0x20
	v_lshrrev_b32_e32 v44, 16, v5
	;; [unrolled: 2-line block ×16, first 2 shown]
	v_mul_f16_e32 v59, v43, v20
	s_wait_loadcnt 0x11
	v_lshrrev_b32_e32 v60, 16, v21
	s_wait_loadcnt 0x10
	v_lshrrev_b32_e32 v61, 16, v22
	;; [unrolled: 2-line block ×3, first 2 shown]
	v_mul_f16_e32 v43, v43, v56
	v_fma_f16 v56, v4, v56, -v59
	v_mul_f16_e32 v59, v44, v22
	s_delay_alu instid0(VALU_DEP_3)
	v_fmac_f16_e32 v43, v4, v20
	v_mul_f16_e32 v4, v44, v61
	s_wait_loadcnt 0xe
	v_lshrrev_b32_e32 v20, 16, v24
	v_mul_f16_e32 v44, v45, v24
	v_fma_f16 v59, v5, v61, -v59
	v_pack_b32_f16 v43, v43, v56
	v_fmac_f16_e32 v4, v5, v22
	v_mul_f16_e32 v5, v45, v20
	s_wait_loadcnt 0xd
	v_lshrrev_b32_e32 v22, 16, v26
	v_fma_f16 v20, v6, v20, -v44
	v_mul_f16_e32 v44, v46, v26
	ds_store_b32 v3, v43
	v_pack_b32_f16 v3, v4, v59
	v_fmac_f16_e32 v5, v6, v24
	v_mul_f16_e32 v4, v46, v22
	s_wait_loadcnt 0xc
	v_lshrrev_b32_e32 v6, 16, v27
	v_mul_f16_e32 v24, v47, v27
	v_fma_f16 v22, v7, v22, -v44
	v_pack_b32_f16 v5, v5, v20
	v_fmac_f16_e32 v4, v7, v26
	v_mul_f16_e32 v7, v47, v6
	s_wait_loadcnt 0xb
	v_lshrrev_b32_e32 v20, 16, v28
	v_fma_f16 v6, v9, v6, -v24
	v_mul_f16_e32 v24, v48, v28
	ds_store_2addr_b32 v2, v3, v5 offset0:33 offset1:66
	v_pack_b32_f16 v3, v4, v22
	v_fmac_f16_e32 v7, v9, v27
	v_mul_f16_e32 v4, v48, v20
	s_wait_loadcnt 0xa
	v_lshrrev_b32_e32 v5, 16, v29
	v_mul_f16_e32 v9, v49, v29
	v_fma_f16 v20, v10, v20, -v24
	v_pack_b32_f16 v6, v7, v6
	v_fmac_f16_e32 v4, v10, v28
	v_mul_f16_e32 v7, v49, v5
	v_fma_f16 v5, v11, v5, -v9
	s_wait_loadcnt 0x9
	v_lshrrev_b32_e32 v9, 16, v30
	v_mul_f16_e32 v10, v50, v30
	ds_store_2addr_b32 v2, v3, v6 offset0:99 offset1:132
	v_pack_b32_f16 v3, v4, v20
	v_fmac_f16_e32 v7, v11, v29
	v_mul_f16_e32 v4, v50, v9
	s_wait_loadcnt 0x8
	v_lshrrev_b32_e32 v6, 16, v31
	v_mul_f16_e32 v11, v51, v31
	v_fma_f16 v9, v12, v9, -v10
	v_pack_b32_f16 v5, v7, v5
	v_fmac_f16_e32 v4, v12, v30
	v_mul_f16_e32 v7, v51, v6
	s_wait_loadcnt 0x7
	v_lshrrev_b32_e32 v10, 16, v32
	v_fma_f16 v6, v13, v6, -v11
	v_mul_f16_e32 v11, v52, v32
	ds_store_2addr_b32 v2, v3, v5 offset0:165 offset1:198
	v_pack_b32_f16 v3, v4, v9
	v_fmac_f16_e32 v7, v13, v31
	v_mul_f16_e32 v4, v52, v10
	s_wait_loadcnt 0x6
	v_lshrrev_b32_e32 v5, 16, v33
	v_fma_f16 v9, v14, v10, -v11
	v_mul_f16_e32 v10, v53, v33
	v_pack_b32_f16 v6, v7, v6
	v_fmac_f16_e32 v4, v14, v32
	v_mul_f16_e32 v7, v53, v5
	s_wait_loadcnt 0x5
	v_lshrrev_b32_e32 v11, 16, v34
	v_mul_f16_e32 v12, v54, v34
	v_fma_f16 v5, v15, v5, -v10
	v_pack_b32_f16 v4, v4, v9
	v_fmac_f16_e32 v7, v15, v33
	v_mul_f16_e32 v9, v54, v11
	v_fma_f16 v10, v16, v11, -v12
	s_wait_loadcnt 0x4
	v_lshrrev_b32_e32 v11, 16, v35
	v_mul_f16_e32 v12, v55, v35
	v_pack_b32_f16 v5, v7, v5
	v_fmac_f16_e32 v9, v16, v34
	s_wait_loadcnt 0x3
	v_lshrrev_b32_e32 v7, 16, v36
	v_mul_f16_e32 v13, v55, v11
	v_fma_f16 v11, v17, v11, -v12
	v_mul_f16_e32 v12, v57, v36
	s_wait_loadcnt 0x2
	v_lshrrev_b32_e32 v14, 16, v40
	v_pack_b32_f16 v9, v9, v10
	v_mul_f16_e32 v10, v57, v7
	v_fmac_f16_e32 v13, v17, v35
	v_fma_f16 v7, v18, v7, -v12
	v_mul_f16_e32 v12, v58, v40
	s_wait_loadcnt 0x1
	v_lshrrev_b32_e32 v15, 16, v0
	s_wait_loadcnt 0x0
	v_lshrrev_b32_e32 v17, 16, v1
	v_mul_f16_e32 v16, v58, v14
	v_fmac_f16_e32 v10, v18, v36
	v_fma_f16 v12, v19, v14, -v12
	v_mul_f16_e32 v14, v60, v0
	v_mul_f16_e32 v18, v60, v15
	;; [unrolled: 1-line block ×4, first 2 shown]
	v_fmac_f16_e32 v16, v19, v40
	v_fma_f16 v14, v21, v15, -v14
	v_fmac_f16_e32 v18, v21, v0
	v_fma_f16 v0, v23, v17, -v20
	v_fmac_f16_e32 v22, v23, v1
	v_pack_b32_f16 v1, v13, v11
	v_pack_b32_f16 v7, v10, v7
	;; [unrolled: 1-line block ×5, first 2 shown]
	v_add_nc_u32_e32 v2, 0x600, v2
	ds_store_2addr_b32 v41, v3, v6 offset0:103 offset1:136
	ds_store_2addr_b32 v42, v4, v5 offset0:41 offset1:74
	;; [unrolled: 1-line block ×5, first 2 shown]
.LBB0_3:
	s_or_b32 exec_lo, exec_lo, s3
	v_mov_b32_e32 v15, 0
                                        ; kill: def $vgpr0 killed $sgpr0 killed $exec
	global_wb scope:SCOPE_SE
	s_wait_dscnt 0x0
	s_wait_kmcnt 0x0
	s_barrier_signal -1
	s_barrier_wait -1
	global_inv scope:SCOPE_SE
                                        ; implicit-def: $vgpr21
                                        ; implicit-def: $vgpr1
                                        ; implicit-def: $vgpr3
                                        ; implicit-def: $vgpr5
                                        ; implicit-def: $vgpr7
                                        ; implicit-def: $vgpr18
                                        ; implicit-def: $vgpr20
                                        ; implicit-def: $vgpr13
                                        ; implicit-def: $vgpr54
	s_and_saveexec_b32 s2, vcc_lo
	s_cbranch_execz .LBB0_5
; %bb.4:
	v_lshl_add_u32 v9, v25, 2, v37
	s_delay_alu instid0(VALU_DEP_1)
	v_add_nc_u32_e32 v0, 0x400, v9
	ds_load_2addr_b32 v[15:16], v9 offset1:33
	ds_load_2addr_b32 v[12:13], v9 offset0:66 offset1:99
	ds_load_2addr_b32 v[19:20], v9 offset0:132 offset1:165
	;; [unrolled: 1-line block ×7, first 2 shown]
	ds_load_b32 v21, v9 offset:2112
	s_wait_dscnt 0x7
	v_alignbit_b32 v54, v12, v12, 16
.LBB0_5:
	s_wait_alu 0xfffe
	s_or_b32 exec_lo, exec_lo, s2
	s_wait_dscnt 0x0
	v_pk_add_f16 v41, v16, v21 neg_lo:[0,1] neg_hi:[0,1]
	v_pk_add_f16 v43, v54, v1 op_sel:[1,0] op_sel_hi:[0,1] neg_lo:[0,1] neg_hi:[0,1]
	v_pk_add_f16 v62, v21, v16
	v_pk_add_f16 v61, v1, v54 op_sel:[1,0] op_sel_hi:[0,1]
	v_pk_add_f16 v42, v13, v0 neg_lo:[0,1] neg_hi:[0,1]
	v_lshrrev_b32_e32 v85, 16, v41
	v_lshrrev_b32_e32 v84, 16, v43
	v_pk_add_f16 v44, v19, v3 neg_lo:[0,1] neg_hi:[0,1]
	v_lshrrev_b32_e32 v69, 16, v61
	v_lshrrev_b32_e32 v68, 16, v42
	v_mul_f16_e32 v27, 0xb5c8, v85
	v_mul_f16_e32 v32, 0xbb29, v85
	v_mul_f16_e32 v35, 0xbbf7, v85
	v_mul_f16_e32 v26, 0xb964, v84
	v_mul_f16_e32 v33, 0xba62, v84
	v_fmamk_f16 v9, v62, 0x3b76, v27
	v_fmamk_f16 v10, v62, 0x3722, v32
	;; [unrolled: 1-line block ×4, first 2 shown]
	v_mul_f16_e32 v40, 0xb1e1, v84
	v_add_f16_e32 v9, v9, v15
	v_add_f16_e32 v10, v10, v15
	;; [unrolled: 1-line block ×3, first 2 shown]
	v_pk_add_f16 v66, v0, v13
	v_fmamk_f16 v23, v69, 0xbbdd, v40
	v_add_f16_e32 v9, v12, v9
	v_fmamk_f16 v12, v69, 0xb8d2, v33
	v_mul_f16_e32 v29, 0xbb29, v68
	v_mul_f16_e32 v36, 0x31e1, v68
	v_lshrrev_b32_e32 v74, 16, v44
	v_add_f16_e32 v11, v23, v11
	v_add_f16_e32 v10, v12, v10
	v_fmamk_f16 v12, v66, 0x3722, v29
	v_mul_f16_e32 v51, 0x3bb2, v68
	v_fmamk_f16 v23, v66, 0xbbdd, v36
	v_pk_add_f16 v70, v3, v19
	v_mul_f16_e32 v30, 0xbbf7, v74
	v_pk_add_f16 v46, v20, v2 neg_lo:[0,1] neg_hi:[0,1]
	v_add_f16_e32 v9, v12, v9
	v_fmamk_f16 v12, v66, 0xb461, v51
	v_add_f16_e32 v10, v23, v10
	v_fmamk_f16 v23, v70, 0x2de8, v30
	v_mul_f16_e32 v50, 0x3bb2, v74
	v_mul_f16_e32 v53, 0x35c8, v74
	v_lshrrev_b32_e32 v94, 16, v46
	v_pk_add_f16 v71, v17, v5 neg_lo:[0,1] neg_hi:[0,1]
	v_pk_mul_f16 v45, 0x3b7639e9, v62
	v_add_f16_e32 v11, v12, v11
	v_add_f16_e32 v9, v23, v9
	v_fmamk_f16 v12, v70, 0xb461, v50
	v_fmamk_f16 v23, v70, 0x3b76, v53
	v_pk_add_f16 v72, v2, v20
	v_mul_f16_e32 v34, 0xbbb2, v94
	v_lshrrev_b32_e32 v98, 16, v71
	v_mul_f16_e32 v52, 0x3964, v94
	v_pk_mul_f16 v14, 0xbbf7b964, v43
	v_pk_fma_f16 v22, 0xb964b5c8, v41, v45 op_sel:[0,0,1] op_sel_hi:[1,1,0]
	v_add_f16_e32 v10, v12, v10
	v_add_f16_e32 v11, v23, v11
	v_fmamk_f16 v12, v72, 0xb461, v34
	v_pk_add_f16 v77, v5, v17
	v_mul_f16_e32 v47, 0xba62, v98
	v_fmamk_f16 v23, v72, 0x39e9, v52
	v_pk_fma_f16 v28, 0x2de839e9, v61, v14
	v_pk_mul_f16 v75, 0x3722b8d2, v66
	v_add_f16_e32 v9, v12, v9
	v_fmamk_f16 v12, v77, 0xb8d2, v47
	v_add_f16_e32 v10, v23, v10
	v_lshrrev_b32_e32 v23, 16, v22
	v_pk_fma_f16 v31, 0xba62bb29, v42, v75 op_sel:[0,0,1] op_sel_hi:[1,1,0]
	v_pk_mul_f16 v90, 0x2de8bbdd, v70
	v_mul_f16_e32 v60, 0xbb29, v94
	v_pk_add_f16 v112, v18, v4 neg_lo:[0,1] neg_hi:[0,1]
	v_add_f16_e32 v9, v12, v9
	v_add_f16_e32 v12, v23, v15
	v_lshrrev_b32_e32 v23, 16, v28
	v_pk_fma_f16 v48, 0xb1e1bbf7, v44, v90 op_sel:[0,0,1] op_sel_hi:[1,1,0]
	v_pk_mul_f16 v100, 0xb461bacd, v72
	v_fmamk_f16 v24, v72, 0x3722, v60
	v_mul_f16_e32 v63, 0xb5c8, v98
	v_lshrrev_b32_e32 v121, 16, v112
	v_add_f16_e32 v12, v23, v12
	v_lshrrev_b32_e32 v23, 16, v31
	v_pk_fma_f16 v49, 0x3836bbb2, v46, v100 op_sel:[0,0,1] op_sel_hi:[1,1,0]
	v_add_f16_e32 v11, v24, v11
	v_pk_mul_f16 v110, 0xb8d2b461, v77
	v_fmamk_f16 v24, v77, 0x3b76, v63
	v_mul_f16_e32 v73, 0xb836, v98
	v_pk_add_f16 v83, v4, v18
	v_mul_f16_e32 v55, 0xb836, v121
	v_add_f16_e32 v12, v23, v12
	v_lshrrev_b32_e32 v23, 16, v48
	v_pk_add_f16 v141, v6, v7 neg_lo:[0,1] neg_hi:[0,1]
	v_mul_f16_e32 v67, 0xb836, v85
	v_pk_fma_f16 v56, 0x3bb2ba62, v71, v110 op_sel:[0,0,1] op_sel_hi:[1,1,0]
	v_fmamk_f16 v57, v77, 0xbacd, v73
	v_add_f16_e32 v10, v24, v10
	v_fmamk_f16 v24, v83, 0xbacd, v55
	v_pk_mul_f16 v123, 0xbacd3722, v83
	v_add_f16_e32 v12, v23, v12
	v_lshrrev_b32_e32 v23, 16, v49
	v_mul_f16_e32 v64, 0xbbf7, v121
	v_pk_add_f16 v80, v7, v6
	v_lshrrev_b32_e32 v164, 16, v141
	v_add_f16_e32 v11, v57, v11
	v_add_f16_e32 v9, v24, v9
	v_pk_fma_f16 v58, 0x3b29b836, v112, v123 op_sel:[0,0,1] op_sel_hi:[1,1,0]
	v_add_f16_e32 v12, v23, v12
	v_lshrrev_b32_e32 v23, 16, v56
	v_fmamk_f16 v24, v83, 0x2de8, v64
	v_pk_mul_f16 v185, 0xbbdd3b76, v80
	v_mul_f16_e32 v76, 0x3a62, v121
	v_mul_f16_e64 v57, 0xb1e1, v164
	v_fmamk_f16 v81, v62, 0xbacd, v67
	v_mul_f16_e32 v107, 0x3b29, v84
	v_mul_f16_e32 v126, 0xb1e1, v85
	v_add_f16_e32 v12, v23, v12
	v_lshrrev_b32_e32 v23, 16, v58
	v_pk_fma_f16 v59, 0x35c8b1e1, v141, v185 op_sel:[0,0,1] op_sel_hi:[1,1,0]
	v_add_f16_e32 v24, v24, v10
	v_fmamk_f16 v10, v83, 0xb8d2, v76
	v_fmamk_f16 v79, v80, 0xbbdd, v57
	v_add_f16_e32 v81, v81, v15
	v_fmamk_f16 v82, v69, 0x3722, v107
	v_fmamk_f16 v86, v62, 0xbbdd, v126
	v_mul_f16_e32 v127, 0x35c8, v84
	v_mul_f16_e32 v108, 0xbbf7, v68
	v_add_f16_e32 v12, v23, v12
	v_lshrrev_b32_e32 v23, 16, v59
	v_add_f16_e32 v11, v10, v11
	v_add_f16_e32 v10, v79, v9
	;; [unrolled: 1-line block ×4, first 2 shown]
	v_fmamk_f16 v82, v69, 0x3b76, v127
	v_fmamk_f16 v86, v66, 0x2de8, v108
	v_mul_f16_e64 v128, 0xb836, v68
	v_mul_f16_e32 v106, 0x3a62, v74
	v_add_f16_e32 v9, v23, v12
	v_add_f16_e32 v12, v82, v81
	;; [unrolled: 1-line block ×3, first 2 shown]
	v_fma_f16 v79, 0xbacd, v66, v128
	v_fmamk_f16 v81, v70, 0xb8d2, v106
	v_mul_f16_e64 v131, 0x3964, v74
	v_mul_f16_e32 v99, 0xb5c8, v94
	v_mul_f16_e64 v65, 0xb836, v164
	v_add_f16_e32 v12, v79, v12
	v_add_f16_e32 v23, v81, v23
	v_fma_f16 v79, 0x39e9, v70, v131
	v_fmamk_f16 v81, v72, 0x3b76, v99
	v_mul_f16_e64 v133, 0xba62, v94
	v_mul_f16_e32 v102, 0xb1e1, v98
	v_fmamk_f16 v82, v80, 0xbacd, v65
	v_add_f16_e32 v79, v79, v12
	v_add_f16_e32 v23, v81, v23
	v_fma_f16 v81, 0xb8d2, v72, v133
	v_fmamk_f16 v87, v77, 0xbbdd, v102
	v_mul_f16_e64 v130, 0x3b29, v98
	v_mul_f16_e32 v103, 0x3964, v121
	v_mul_f16_e64 v78, 0x3964, v164
	v_add_f16_e32 v12, v82, v24
	v_add_f16_e32 v24, v81, v79
	;; [unrolled: 1-line block ×3, first 2 shown]
	v_fma_f16 v79, 0x3722, v77, v130
	v_fmamk_f16 v81, v83, 0x39e9, v103
	v_mul_f16_e64 v132, 0xbbb2, v121
	v_mul_f16_e64 v104, 0xbbb2, v164
	v_fmamk_f16 v86, v80, 0x39e9, v78
	v_add_f16_e32 v24, v79, v24
	v_add_f16_e32 v23, v81, v23
	v_fma_f16 v79, 0xb461, v83, v132
	v_mul_f16_e64 v136, 0x3bf7, v164
	v_fmamk_f16 v82, v80, 0xb461, v104
	v_lshrrev_b32_e32 v146, 16, v62
	v_mul_f16_e32 v81, 0xb964, v41
	v_add_f16_e32 v11, v86, v11
	v_add_f16_e32 v86, v79, v24
	v_fma_f16 v88, 0x2de8, v80, v136
	v_add_f16_e32 v24, v82, v23
	v_lshrrev_b32_e32 v79, 16, v15
	v_fma_f16 v89, v146, 0x39e9, -v81
	v_mul_f16_e32 v82, 0xbbf7, v43
	v_mul_f16_e32 v87, 0xbb29, v41
	v_add_f16_e32 v23, v88, v86
	v_mul_f16_e32 v92, 0xbbf7, v41
	v_add_f16_e32 v86, v89, v79
	v_fma_f16 v91, v61, 0x2de8, -v82
	v_mul_f16_e32 v97, 0xbbb2, v85
	v_fma_f16 v89, v146, 0x3722, -v87
	v_mul_f16_e32 v88, 0xba62, v43
	;; [unrolled: 2-line block ×3, first 2 shown]
	v_add_f16_e32 v86, v91, v86
	v_fmamk_f16 v91, v62, 0xb461, v97
	v_mul_f16_e32 v113, 0xbbb2, v41
	v_add_f16_e32 v89, v89, v79
	v_fma_f16 v96, v61, 0xb8d2, -v88
	v_add_f16_e32 v95, v95, v79
	v_fma_f16 v101, v61, 0xbbdd, -v93
	v_mul_f16_e32 v119, 0xba62, v85
	v_mul_f16_e32 v105, 0x3836, v84
	v_add_f16_e32 v85, v91, v15
	v_fma_f16 v91, v146, 0xb461, -v113
	v_mul_f16_e32 v114, 0x3836, v43
	v_add_f16_e32 v89, v96, v89
	v_add_f16_e32 v96, v101, v95
	v_fmamk_f16 v95, v62, 0xb8d2, v119
	v_fmamk_f16 v101, v69, 0xbacd, v105
	v_mul_f16_e32 v120, 0x3bb2, v84
	v_add_f16_e32 v84, v91, v79
	v_fma_f16 v91, v61, 0xbacd, -v114
	v_mul_f16_e64 v139, 0xba62, v41
	v_mul_f16_e64 v157, 0xb836, v41
	v_add_f16_e32 v95, v95, v15
	v_fmamk_f16 v109, v69, 0xb461, v120
	v_add_f16_e32 v101, v101, v85
	v_add_f16_e32 v91, v91, v84
	v_fma_f16 v84, v146, 0xb8d2, -v139
	v_mul_f16_e64 v140, 0x3bb2, v43
	v_fma_f16 v85, v146, 0xbacd, -v157
	v_mul_f16_e64 v159, 0x3b29, v43
	v_mul_f16_e64 v172, 0xb1e1, v41
	v_add_f16_e32 v111, v109, v95
	v_add_f16_e32 v84, v84, v79
	v_fma_f16 v95, v61, 0xb461, -v140
	v_add_f16_e32 v109, v85, v79
	v_fma_f16 v115, v61, 0x3722, -v159
	v_mul_f16_e64 v171, 0x35c8, v43
	v_fma_f16 v43, v146, 0xbbdd, -v172
	v_lshrrev_b32_e32 v148, 16, v66
	v_mul_f16_e32 v85, 0xba62, v42
	v_add_f16_e32 v117, v95, v84
	v_add_f16_e32 v115, v115, v109
	;; [unrolled: 1-line block ×3, first 2 shown]
	v_fma_f16 v116, v61, 0x3b76, -v171
	v_fma_f16 v118, v148, 0xb8d2, -v85
	v_mul_f16_e32 v95, 0x31e1, v42
	v_mul_f16_e32 v109, 0x3bb2, v42
	v_pk_fma_f16 v84, 0xb964b5c8, v41, v45 op_sel:[0,0,1] op_sel_hi:[1,1,0] neg_lo:[0,1,0] neg_hi:[0,1,0]
	v_add_f16_e32 v41, v116, v43
	v_add_f16_e32 v43, v118, v86
	v_fma_f16 v45, v148, 0xbbdd, -v95
	v_fma_f16 v86, v148, 0xb461, -v109
	v_mul_f16_e32 v116, 0x3964, v68
	v_mul_f16_e32 v124, 0x3964, v42
	v_mul_f16_e64 v137, 0xb5c8, v68
	v_add_f16_e32 v45, v45, v89
	v_add_f16_e32 v68, v86, v96
	v_fmamk_f16 v86, v66, 0x39e9, v116
	v_fma_f16 v89, v148, 0x39e9, -v124
	v_fma_f16 v96, 0x3b76, v66, v137
	v_mul_f16_e64 v165, 0xbbf7, v42
	v_mul_f16_e64 v147, 0xb5c8, v42
	v_add_f16_e32 v118, v86, v101
	v_add_f16_e32 v91, v89, v91
	;; [unrolled: 1-line block ×3, first 2 shown]
	v_fma_f16 v111, v148, 0x2de8, -v165
	v_mul_f16_e64 v175, 0xb836, v42
	v_lshrrev_b32_e32 v152, 16, v70
	v_mul_f16_e32 v89, 0xb1e1, v44
	v_mul_f16_e32 v101, 0x3bb2, v44
	v_fma_f16 v86, v148, 0x3b76, -v147
	v_add_f16_e64 v129, v111, v115
	v_fma_f16 v111, v148, 0xbacd, -v175
	v_fma_f16 v122, v152, 0xbbdd, -v89
	;; [unrolled: 1-line block ×3, first 2 shown]
	v_mul_f16_e32 v115, 0x35c8, v44
	v_mul_f16_e64 v138, 0xbb29, v44
	v_mul_f16_e64 v144, 0xb836, v74
	;; [unrolled: 1-line block ×3, first 2 shown]
	v_add_f16_e32 v117, v86, v117
	v_pk_fma_f16 v86, 0xba62bb29, v42, v75 op_sel:[0,0,1] op_sel_hi:[1,1,0] neg_lo:[0,1,0] neg_hi:[0,1,0]
	v_add_f16_e32 v41, v111, v41
	v_add_f16_e32 v42, v122, v43
	;; [unrolled: 1-line block ×3, first 2 shown]
	v_fma_f16 v45, v152, 0x3b76, -v115
	v_mul_f16_e32 v125, 0xbb29, v74
	v_fma_f16 v74, v152, 0x3722, -v138
	v_fma_f16 v75, 0xbacd, v70, v144
	v_fma_f16 v111, v152, 0xbacd, -v155
	v_mul_f16_e64 v170, 0x3a62, v44
	v_lshrrev_b32_e32 v156, 16, v72
	v_mul_f16_e32 v122, 0xbb29, v46
	v_add_f16_e32 v45, v45, v68
	v_fmamk_f16 v68, v70, 0x3722, v125
	v_add_f16_e32 v74, v74, v91
	v_add_f16_e32 v75, v75, v96
	;; [unrolled: 1-line block ×3, first 2 shown]
	v_fma_f16 v117, v152, 0xb8d2, -v170
	v_mul_f16_e64 v178, 0x3964, v44
	v_mul_f16_e32 v91, 0x3836, v46
	v_fma_f16 v135, v156, 0x3722, -v122
	v_add_f16_e32 v68, v68, v118
	v_mul_f16_e32 v111, 0x3964, v46
	v_add_f16_e64 v117, v117, v129
	v_fma_f16 v118, v152, 0x39e9, -v178
	v_fma_f16 v129, v156, 0xbacd, -v91
	v_pk_fma_f16 v90, 0xb1e1bbf7, v44, v90 op_sel:[0,0,1] op_sel_hi:[1,1,0] neg_lo:[0,1,0] neg_hi:[0,1,0]
	v_add_f16_e64 v44, v135, v45
	v_mul_f16_e64 v135, 0xb1e1, v94
	v_mul_f16_e64 v143, 0xb1e1, v46
	;; [unrolled: 1-line block ×4, first 2 shown]
	v_fma_f16 v134, v156, 0x39e9, -v111
	v_add_f16_e32 v41, v118, v41
	v_add_f16_e64 v42, v129, v42
	v_mul_f16_e64 v174, 0xb5c8, v46
	v_fma_f16 v45, 0xbbdd, v72, v135
	v_fma_f16 v94, v156, 0xbbdd, -v143
	v_fma_f16 v118, 0x2de8, v72, v150
	v_fma_f16 v129, v156, 0x2de8, -v163
	v_mul_f16_e64 v180, 0xba62, v46
	v_add_f16_e64 v43, v134, v43
	v_fma_f16 v134, v156, 0x3b76, -v174
	v_add_f16_e32 v45, v45, v68
	v_add_f16_e32 v68, v94, v74
	;; [unrolled: 1-line block ×3, first 2 shown]
	v_add_f16_e64 v75, v129, v96
	v_lshrrev_b32_e32 v160, 16, v77
	v_mul_f16_e32 v96, 0x3bb2, v71
	v_mul_f16_e32 v118, 0xb5c8, v71
	v_pk_fma_f16 v94, 0x3836bbb2, v46, v100 op_sel:[0,0,1] op_sel_hi:[1,1,0] neg_lo:[0,1,0] neg_hi:[0,1,0]
	v_fma_f16 v46, v156, 0xb8d2, -v180
	v_mul_f16_e64 v145, 0x3bf7, v98
	v_add_f16_e64 v117, v134, v117
	v_fma_f16 v100, v160, 0xb461, -v96
	v_fma_f16 v134, v160, 0x3b76, -v118
	v_add_f16_e32 v41, v46, v41
	v_fma_f16 v46, 0x2de8, v77, v145
	v_mul_f16_e64 v151, 0x3bf7, v71
	v_mul_f16_e64 v158, 0xb964, v98
	;; [unrolled: 1-line block ×5, first 2 shown]
	v_add_f16_e32 v42, v100, v42
	v_add_f16_e64 v43, v134, v43
	v_add_f16_e32 v45, v46, v45
	v_fma_f16 v46, v160, 0x2de8, -v151
	v_fma_f16 v98, 0x39e9, v77, v158
	v_fma_f16 v100, v160, 0x39e9, -v169
	v_fma_f16 v134, v160, 0xbbdd, -v176
	;; [unrolled: 1-line block ×3, first 2 shown]
	v_add_f16_e32 v46, v46, v68
	v_add_f16_e32 v68, v98, v74
	;; [unrolled: 1-line block ×3, first 2 shown]
	v_add_f16_e64 v75, v134, v117
	v_lshrrev_b32_e32 v162, 16, v83
	v_mul_f16_e32 v100, 0x3b29, v112
	v_mul_f16_e32 v117, 0xbbf7, v112
	v_add_f16_e64 v44, v142, v44
	v_mul_f16_e64 v181, 0x3b29, v71
	v_mul_f16_e64 v142, 0x3a62, v112
	v_pk_fma_f16 v98, 0x3bb2ba62, v71, v110 op_sel:[0,0,1] op_sel_hi:[1,1,0] neg_lo:[0,1,0] neg_hi:[0,1,0]
	v_fma_f16 v71, v162, 0x3722, -v100
	v_fma_f16 v110, v162, 0x2de8, -v117
	v_mul_f16_e64 v149, 0xb5c8, v121
	v_mul_f16_e64 v154, 0xb5c8, v112
	;; [unrolled: 1-line block ×5, first 2 shown]
	v_pk_fma_f16 v112, 0x3b29b836, v112, v123 op_sel:[0,0,1] op_sel_hi:[1,1,0] neg_lo:[0,1,0] neg_hi:[0,1,0]
	v_pk_fma_f16 v123, 0x2de839e9, v61, v14 neg_lo:[0,0,1] neg_hi:[0,0,1]
	v_add_f16_e32 v14, v84, v79
	v_add_f16_e32 v42, v71, v42
	;; [unrolled: 1-line block ×3, first 2 shown]
	v_fma_f16 v71, 0x3b76, v83, v149
	v_fma_f16 v110, v162, 0x3b76, -v154
	v_add_f16_e32 v14, v123, v14
	v_fma_f16 v134, v160, 0x3722, -v181
	v_mul_f16_e64 v161, 0xb1e1, v121
	v_add_f16_e64 v186, v71, v45
	v_add_f16_e32 v45, v110, v46
	v_fma_f16 v71, v162, 0xbbdd, -v173
	v_lshrrev_b32_e32 v167, 16, v80
	v_mul_f16_e64 v110, 0x35c8, v141
	v_add_f16_e32 v14, v86, v14
	v_add_f16_e64 v41, v134, v41
	v_fma_f16 v134, v162, 0xb8d2, -v142
	v_fma_f16 v46, 0xbbdd, v83, v161
	v_add_f16_e32 v74, v71, v74
	v_fma_f16 v71, v167, 0x3b76, -v110
	v_mul_f16_e64 v153, 0x3964, v141
	v_mul_f16_e64 v168, 0x3b29, v164
	v_add_f16_e32 v14, v90, v14
	v_add_f16_e64 v44, v134, v44
	v_fma_f16 v121, v162, 0x39e9, -v179
	v_add_f16_e32 v68, v46, v68
	v_fma_f16 v46, v162, 0xb461, -v183
	v_add_f16_e32 v42, v71, v42
	v_mul_f16_e64 v134, 0xb836, v141
	v_mul_f16_e64 v166, 0xba62, v141
	v_fma_f16 v71, v167, 0x39e9, -v153
	v_fma_f16 v177, 0x3722, v80, v168
	v_add_f16_e32 v14, v94, v14
	s_clause 0x1
	s_load_b64 s[4:5], s[0:1], 0x20
	s_load_b64 s[2:3], s[0:1], 0x8
	v_add_f16_e32 v75, v121, v75
	v_add_f16_e32 v41, v46, v41
	v_fma_f16 v46, v167, 0xbacd, -v134
	v_fma_f16 v121, v167, 0xb8d2, -v166
	v_add_f16_e32 v44, v71, v44
	v_add_f16_e64 v71, v177, v68
	v_mul_f16_e64 v177, 0x3b29, v141
	v_mul_f16_e64 v182, 0xbbb2, v141
	;; [unrolled: 1-line block ×3, first 2 shown]
	v_add_f16_e32 v14, v98, v14
	v_mul_f16_e64 v164, 0xba62, v164
	v_add_f16_e32 v43, v46, v43
	v_add_f16_e32 v46, v121, v45
	v_fma_f16 v45, v167, 0x3722, -v177
	v_fma_f16 v68, v167, 0xb461, -v182
	v_pk_fma_f16 v121, 0x35c8b1e1, v141, v185 op_sel:[0,0,1] op_sel_hi:[1,1,0] neg_lo:[0,1,0] neg_hi:[0,1,0]
	v_fma_f16 v141, v167, 0x2de8, -v184
	v_add_f16_e32 v14, v112, v14
	v_fma_f16 v185, 0xb8d2, v80, v164
	v_add_f16_e32 v74, v45, v74
	v_add_f16_e32 v75, v68, v75
	v_add_f16_e64 v68, v141, v41
	v_add_f16_e32 v45, v121, v14
	v_add_f16_e64 v14, v185, v186
	v_mul_lo_u16 v41, v38, 17
	global_wb scope:SCOPE_SE
	s_wait_kmcnt 0x0
	s_barrier_signal -1
	s_barrier_wait -1
	global_inv scope:SCOPE_SE
	s_and_saveexec_b32 s0, vcc_lo
	s_cbranch_execz .LBB0_7
; %bb.6:
	v_mul_f16_e64 v185, 0xbbdd, v146
	v_mul_f16_e64 v186, 0x3b76, v61
	;; [unrolled: 1-line block ×5, first 2 shown]
	v_add_f16_e64 v172, v172, v185
	v_mul_f16_e64 v185, 0xbacd, v148
	v_add_f16_e64 v171, v171, v186
	v_mul_f16_e64 v186, 0xb8d2, v156
	v_add_f16_e64 v178, v178, v190
	v_add_f16_e64 v172, v172, v79
	;; [unrolled: 1-line block ×3, first 2 shown]
	v_sub_f16_e64 v126, v192, v126
	v_add_f16_e64 v180, v180, v186
	v_mul_f16_e64 v188, 0x39e9, v146
	v_add_f16_e64 v171, v171, v172
	v_mul_f16_e64 v172, 0x3b76, v69
	v_add_f16_e32 v126, v126, v15
	v_mul_f16_e64 v191, 0x3722, v146
	v_mul_f16_e64 v187, 0x3b76, v62
	v_add_f16_e64 v171, v175, v171
	v_sub_f16_e64 v127, v172, v127
	v_mul_f16_e64 v172, 0xbacd, v66
	v_mul_f16_e64 v175, 0x2de8, v146
	;; [unrolled: 1-line block ×3, first 2 shown]
	v_add_f16_e64 v171, v178, v171
	v_add_f16_e64 v178, v181, v193
	v_add_f16_e32 v126, v127, v126
	v_sub_f16_e64 v128, v172, v128
	v_mul_f16_e64 v172, 0xb8d2, v146
	v_add_f16_e64 v171, v180, v171
	v_mul_f16_e64 v180, 0xb461, v146
	v_mul_f16_e64 v146, 0xbacd, v146
	v_add_f16_e64 v126, v128, v126
	v_mul_f16_e64 v128, 0xb461, v162
	v_add_f16_e64 v171, v178, v171
	;; [unrolled: 2-line block ×4, first 2 shown]
	v_mul_f16_e64 v183, 0xb8d2, v152
	v_sub_f16_e64 v131, v178, v131
	v_mul_f16_e64 v178, 0xb8d2, v72
	v_add_f16_e64 v146, v146, v79
	v_add_f16_e64 v128, v128, v171
	v_mul_f16_e64 v171, 0x3722, v77
	v_add_f16_e64 v126, v131, v126
	v_sub_f16_e64 v131, v178, v133
	v_add_f16_e64 v170, v170, v183
	v_mul_f16_e64 v190, 0xb461, v62
	v_sub_f16_e64 v130, v171, v130
	v_mul_f16_e64 v171, 0xb461, v83
	v_add_f16_e64 v126, v131, v126
	v_mul_f16_e64 v131, 0x3722, v61
	v_mul_f16_e32 v127, 0xb8d2, v62
	v_mul_f16_e32 v62, 0xbacd, v62
	v_sub_f16_e64 v132, v171, v132
	v_add_f16_e64 v126, v130, v126
	v_add_f16_e64 v131, v159, v131
	v_mul_f16_e64 v130, 0x2de8, v148
	v_mul_f16_e64 v181, 0x39e9, v69
	;; [unrolled: 1-line block ×3, first 2 shown]
	v_add_f16_e64 v126, v132, v126
	v_add_f16_e64 v131, v131, v146
	;; [unrolled: 1-line block ×3, first 2 shown]
	v_mul_f16_e64 v132, 0x2de8, v80
	v_mul_f16_e64 v159, 0xbbdd, v69
	;; [unrolled: 1-line block ×4, first 2 shown]
	v_add_f16_e64 v130, v130, v131
	v_sub_f16_e64 v132, v132, v136
	v_mul_f16_e64 v136, 0x3b76, v156
	v_mul_f16_e32 v69, 0x3722, v69
	v_sub_f16_e32 v62, v62, v67
	v_add_f16_e64 v130, v170, v130
	v_add_f16_e64 v126, v132, v126
	;; [unrolled: 1-line block ×3, first 2 shown]
	v_mul_f16_e64 v132, 0xbbdd, v160
	v_mul_f16_e64 v133, 0x2de8, v61
	;; [unrolled: 1-line block ×4, first 2 shown]
	v_add_f16_e64 v130, v136, v130
	v_add_f16_e64 v132, v176, v132
	v_mul_f16_e64 v176, 0x39e9, v162
	v_mul_f16_e64 v131, 0xbacd, v61
	v_mul_f16_e32 v61, 0xb461, v61
	v_sub_f16_e32 v69, v69, v107
	v_add_f16_e64 v130, v132, v130
	v_mul_f16_e64 v132, 0x2de8, v66
	v_add_f16_e32 v62, v62, v15
	v_add_f16_e64 v176, v179, v176
	v_add_f16_e64 v139, v139, v172
	v_mul_f16_e64 v174, 0xb8d2, v148
	v_sub_f16_e64 v108, v132, v108
	v_mul_f16_e64 v132, 0xb461, v167
	v_mul_f16_e64 v136, 0xbbdd, v148
	v_mul_f16_e64 v107, 0xb461, v148
	v_add_f16_e32 v62, v69, v62
	v_mul_f16_e64 v69, 0x39e9, v148
	v_mul_f16_e64 v148, 0x3b76, v148
	v_add_f16_e64 v130, v176, v130
	v_add_f16_e64 v132, v182, v132
	v_mul_f16_e64 v182, 0xb8d2, v70
	v_add_f16_e64 v61, v140, v61
	v_add_f16_e64 v139, v139, v79
	v_add_f16_e32 v62, v108, v62
	v_mul_f16_e64 v108, 0xbbdd, v152
	v_sub_f16_e64 v106, v182, v106
	v_mul_f16_e64 v182, 0xb461, v152
	v_add_f16_e64 v130, v132, v130
	v_mul_f16_e64 v132, 0x3b76, v152
	v_add_f16_e64 v61, v61, v139
	;; [unrolled: 2-line block ×3, first 2 shown]
	v_mul_f16_e64 v148, 0x3722, v152
	v_mul_f16_e64 v152, 0xbacd, v152
	v_add_f16_e32 v62, v106, v62
	v_sub_f16_e64 v99, v139, v99
	v_add_f16_e64 v61, v147, v61
	v_mul_f16_e64 v147, 0xbbdd, v77
	v_add_f16_e64 v152, v155, v152
	v_mul_f16_e64 v171, 0x2de8, v167
	v_add_f16_e32 v62, v99, v62
	v_mul_f16_e64 v99, 0x2de8, v156
	v_sub_f16_e64 v102, v147, v102
	v_add_f16_e64 v61, v152, v61
	v_mul_f16_e64 v152, 0x39e9, v83
	v_add_f16_e64 v171, v184, v171
	v_add_f16_e64 v99, v163, v99
	v_add_f16_e32 v62, v102, v62
	v_mul_f16_e64 v102, 0x39e9, v160
	v_sub_f16_e64 v103, v152, v103
	v_sub_f16_e32 v119, v127, v119
	v_mul_f16_e64 v170, 0x3722, v66
	v_add_f16_e64 v128, v171, v128
	v_mul_f16_e64 v171, 0xbbdd, v66
	v_mul_f16_e32 v67, 0xb461, v66
	v_mul_f16_e64 v179, 0x39e9, v66
	v_mul_f16_e32 v66, 0x3b76, v66
	v_add_f16_e32 v61, v99, v61
	v_add_f16_e64 v102, v169, v102
	v_add_f16_e32 v62, v103, v62
	v_mul_f16_e64 v103, 0xbbdd, v162
	v_sub_f16_e64 v120, v183, v120
	v_add_f16_e32 v119, v119, v15
	v_mul_f16_e64 v176, 0x2de8, v70
	v_mul_f16_e64 v172, 0xb461, v70
	;; [unrolled: 1-line block ×3, first 2 shown]
	v_mul_f16_e32 v106, 0x3722, v70
	v_mul_f16_e32 v70, 0xbacd, v70
	v_add_f16_e32 v61, v102, v61
	v_add_f16_e64 v103, v173, v103
	v_add_f16_e32 v119, v120, v119
	v_sub_f16_e64 v66, v66, v137
	v_add_f16_e64 v113, v113, v180
	v_mul_f16_e64 v139, 0xb461, v72
	v_mul_f16_e64 v147, 0x39e9, v72
	;; [unrolled: 1-line block ×4, first 2 shown]
	v_mul_f16_e32 v72, 0x2de8, v72
	v_add_f16_e32 v61, v103, v61
	v_mul_f16_e64 v103, 0x3722, v167
	v_add_f16_e32 v66, v66, v119
	v_sub_f16_e64 v70, v70, v144
	v_add_f16_e64 v114, v114, v131
	v_add_f16_e32 v113, v113, v79
	v_mul_f16_e32 v102, 0xb8d2, v77
	v_mul_f16_e64 v183, 0x3b76, v77
	v_mul_f16_e32 v120, 0xbacd, v77
	v_add_f16_e64 v103, v177, v103
	v_mul_f16_e64 v177, 0x2de8, v77
	v_mul_f16_e32 v77, 0x39e9, v77
	v_add_f16_e32 v66, v70, v66
	v_sub_f16_e64 v72, v72, v150
	v_add_f16_e32 v113, v114, v113
	v_add_f16_e32 v69, v124, v69
	v_sub_f16_e64 v97, v190, v97
	v_mul_f16_e64 v155, 0xbacd, v156
	v_mul_f16_e64 v163, 0x39e9, v156
	;; [unrolled: 1-line block ×4, first 2 shown]
	v_mul_f16_e32 v127, 0xb461, v80
	v_mul_f16_e32 v119, 0xbacd, v83
	v_mul_f16_e64 v144, 0x2de8, v83
	v_mul_f16_e32 v70, 0xb8d2, v83
	v_mul_f16_e32 v114, 0x3b76, v83
	;; [unrolled: 1-line block ×3, first 2 shown]
	v_add_f16_e32 v66, v72, v66
	v_sub_f16_e64 v77, v77, v158
	v_add_f16_e32 v69, v69, v113
	v_add_f16_e64 v138, v138, v148
	v_sub_f16_e64 v105, v165, v105
	v_add_f16_e32 v97, v97, v15
	v_mul_f16_e64 v173, 0xb461, v160
	v_sub_f16_e32 v104, v127, v104
	v_mul_f16_e64 v127, 0x3b76, v160
	v_mul_f16_e64 v137, 0xbacd, v160
	;; [unrolled: 1-line block ×3, first 2 shown]
	v_add_f16_e32 v66, v77, v66
	v_sub_f16_e64 v77, v83, v161
	v_add_f16_e64 v69, v138, v69
	v_add_f16_e64 v83, v143, v156
	v_add_f16_e32 v97, v105, v97
	v_sub_f16_e64 v105, v179, v116
	v_mul_f16_e64 v180, 0x3722, v162
	v_mul_f16_e64 v131, 0x2de8, v162
	;; [unrolled: 1-line block ×4, first 2 shown]
	v_mul_f16_e32 v124, 0xbbdd, v80
	v_mul_f16_e64 v158, 0xbacd, v80
	v_mul_f16_e64 v148, 0x39e9, v80
	;; [unrolled: 1-line block ×3, first 2 shown]
	v_mul_f16_e32 v80, 0x3722, v80
	v_add_f16_e32 v66, v77, v66
	v_add_f16_e32 v69, v83, v69
	v_add_f16_e64 v77, v151, v160
	v_add_f16_e32 v83, v105, v97
	v_sub_f16_e32 v97, v106, v125
	v_add_f16_e64 v92, v92, v175
	v_sub_f16_e64 v80, v80, v168
	v_add_f16_e32 v69, v77, v69
	v_add_f16_e64 v77, v154, v162
	v_add_f16_e32 v83, v97, v83
	v_sub_f16_e64 v97, v169, v135
	v_add_f16_e32 v92, v92, v79
	v_add_f16_e64 v93, v93, v146
	v_sub_f16_e64 v35, v185, v35
	v_add_f16_e32 v66, v80, v66
	v_add_f16_e32 v69, v77, v69
	;; [unrolled: 1-line block ×3, first 2 shown]
	v_sub_f16_e64 v80, v177, v145
	v_add_f16_e32 v83, v93, v92
	v_add_f16_e32 v92, v109, v107
	;; [unrolled: 1-line block ×3, first 2 shown]
	v_sub_f16_e64 v40, v159, v40
	v_add_f16_e32 v77, v80, v77
	v_sub_f16_e64 v80, v114, v149
	v_add_f16_e32 v83, v92, v83
	v_add_f16_e64 v92, v115, v132
	v_add_f16_e32 v35, v40, v35
	v_sub_f16_e32 v40, v67, v51
	v_add_f16_e64 v67, v87, v191
	v_alignbit_b32 v141, v15, v15, 16
	v_add_f16_e32 v77, v80, v77
	v_add_f16_e32 v80, v92, v83
	;; [unrolled: 1-line block ×4, first 2 shown]
	v_sub_f16_e64 v40, v140, v53
	v_add_f16_e32 v53, v67, v79
	v_add_f16_e64 v67, v88, v157
	v_alignbit_b32 v54, v54, v54, 16
	v_pk_add_f16 v16, v16, v141 op_sel:[0,1] op_sel_hi:[1,0]
	v_add_f16_e32 v80, v83, v80
	v_add_f16_e64 v83, v129, v137
	v_add_f16_e32 v35, v40, v35
	v_sub_f16_e64 v40, v152, v60
	v_add_f16_e32 v53, v67, v53
	v_add_f16_e64 v60, v95, v136
	v_pk_add_f16 v16, v54, v16
	v_mul_f16_e64 v184, 0x39e9, v167
	v_add_f16_e32 v80, v83, v80
	v_add_f16_e64 v83, v142, v150
	v_add_f16_e32 v35, v40, v35
	v_sub_f16_e32 v40, v120, v73
	v_add_f16_e32 v53, v60, v53
	v_add_f16_e64 v60, v101, v182
	v_sub_f16_e64 v32, v189, v32
	v_pk_add_f16 v13, v13, v16
	v_add_f16_e32 v67, v83, v80
	v_add_f16_e64 v73, v153, v184
	v_add_f16_e32 v35, v40, v35
	v_sub_f16_e32 v40, v70, v76
	v_add_f16_e32 v53, v60, v53
	v_add_f16_e64 v60, v111, v163
	v_add_f16_e32 v32, v32, v15
	v_sub_f16_e64 v33, v178, v33
	v_pk_add_f16 v13, v19, v13
	v_add_f16_e32 v35, v40, v35
	v_sub_f16_e64 v40, v148, v78
	v_add_f16_e32 v53, v60, v53
	v_add_f16_e32 v60, v118, v127
	;; [unrolled: 1-line block ×3, first 2 shown]
	v_sub_f16_e64 v33, v171, v36
	v_add_f16_e32 v36, v73, v67
	v_add_f16_e64 v67, v81, v188
	v_pk_add_f16 v13, v20, v13
	v_add_f16_e32 v35, v40, v35
	v_add_f16_e32 v40, v60, v53
	;; [unrolled: 1-line block ×3, first 2 shown]
	v_sub_f16_e64 v33, v172, v50
	v_add_f16_e32 v50, v67, v79
	v_add_f16_e64 v53, v82, v133
	v_pk_add_f16 v13, v17, v13
	v_sub_f16_e64 v20, v187, v27
	v_add_f16_e32 v32, v33, v32
	v_sub_f16_e64 v33, v147, v52
	v_add_f16_e32 v50, v53, v50
	v_add_f16_e64 v52, v85, v174
	v_pk_add_f16 v13, v18, v13
	v_bfi_b32 v18, 0xffff, v22, v84
	v_add_f16_e32 v32, v33, v32
	v_sub_f16_e64 v33, v183, v63
	v_add_f16_e32 v16, v52, v50
	v_add_f16_e32 v50, v89, v108
	v_pk_add_f16 v6, v6, v13
	v_add_f16_e32 v15, v20, v15
	v_add_f16_e32 v32, v33, v32
	v_add_f16_e64 v33, v91, v155
	v_add_f16_e32 v16, v50, v16
	v_sub_f16_e64 v17, v181, v26
	v_bfi_b32 v22, 0xffff, v28, v123
	v_pk_add_f16 v13, v18, v141
	v_pk_add_f16 v6, v7, v6
	v_add_f16_e32 v16, v33, v16
	v_add_f16_e64 v27, v96, v173
	v_add_f16_e32 v15, v17, v15
	v_sub_f16_e64 v17, v170, v29
	v_bfi_b32 v18, 0xffff, v31, v86
	v_pk_add_f16 v7, v22, v13
	v_pk_add_f16 v4, v4, v6
	v_add_f16_e32 v16, v27, v16
	v_add_f16_e32 v15, v17, v15
	v_sub_f16_e64 v17, v176, v30
	v_add_f16_e64 v13, v100, v180
	v_bfi_b32 v22, 0xffff, v48, v90
	v_pk_add_f16 v6, v18, v7
	v_pk_add_f16 v4, v5, v4
	v_add_f16_e32 v15, v17, v15
	v_sub_f16_e64 v7, v139, v34
	v_add_f16_e32 v13, v13, v16
	v_bfi_b32 v16, 0xffff, v49, v94
	v_pk_add_f16 v5, v22, v6
	v_pk_add_f16 v2, v2, v4
	v_add_f16_e32 v6, v7, v15
	v_sub_f16_e32 v7, v102, v47
	v_bfi_b32 v15, 0xffff, v56, v98
	v_pk_add_f16 v4, v16, v5
	v_pk_add_f16 v2, v3, v2
	v_mul_f16_e64 v72, 0x3b76, v167
	v_bfi_b32 v5, 0xffff, v58, v112
	v_add_f16_e32 v6, v7, v6
	v_sub_f16_e32 v7, v119, v55
	v_pk_add_f16 v3, v15, v4
	v_mul_f16_e64 v113, 0xbacd, v167
	v_add_f16_e64 v60, v117, v131
	v_sub_f16_e64 v19, v144, v64
	v_mul_f16_e64 v167, 0xb8d2, v167
	v_pk_add_f16 v0, v0, v2
	v_add_f16_e32 v4, v110, v72
	v_bfi_b32 v15, 0xffff, v59, v121
	v_add_f16_e32 v6, v7, v6
	v_pk_add_f16 v2, v5, v3
	v_sub_f16_e32 v3, v124, v57
	v_add_f16_e32 v40, v60, v40
	v_add_f16_e64 v52, v134, v113
	v_add_f16_e32 v19, v19, v32
	v_sub_f16_e64 v20, v158, v65
	v_add_f16_e64 v93, v166, v167
	v_sub_f16_e64 v51, v165, v164
	v_and_b32_e32 v5, 0xffff, v41
	v_pk_add_f16 v0, v1, v0
	v_add_f16_e32 v4, v4, v13
	v_pk_add_f16 v1, v15, v2
	v_add_f16_e32 v2, v3, v6
	v_add_f16_e32 v40, v52, v40
	;; [unrolled: 1-line block ×6, first 2 shown]
	v_add_lshl_u32 v5, v25, v5, 2
	v_pk_add_f16 v0, v21, v0
	v_add_f16_e32 v13, v104, v62
	v_alignbit_b32 v4, v4, v1, 16
	v_pack_b32_f16 v1, v2, v1
	v_pack_b32_f16 v2, v35, v36
	;; [unrolled: 1-line block ×5, first 2 shown]
	ds_store_b32 v5, v0
	ds_store_2addr_b32 v5, v1, v4 offset0:1 offset1:2
	ds_store_2addr_b32 v5, v3, v2 offset0:3 offset1:4
	ds_store_2addr_b32 v5, v7, v6 offset0:5 offset1:6
	v_pack_b32_f16 v0, v126, v128
	v_pack_b32_f16 v1, v13, v130
	v_perm_b32 v2, v75, v24, 0x5040100
	v_perm_b32 v3, v68, v23, 0x5040100
	;; [unrolled: 1-line block ×8, first 2 shown]
	ds_store_2addr_b32 v5, v1, v0 offset0:7 offset1:8
	ds_store_2addr_b32 v5, v3, v2 offset0:9 offset1:10
	;; [unrolled: 1-line block ×5, first 2 shown]
.LBB0_7:
	s_wait_alu 0xfffe
	s_or_b32 exec_lo, exec_lo, s0
	v_add_lshl_u32 v47, v25, v38, 2
	global_wb scope:SCOPE_SE
	s_wait_dscnt 0x0
	s_barrier_signal -1
	s_barrier_wait -1
	global_inv scope:SCOPE_SE
	v_add_nc_u32_e32 v4, 0x400, v47
	v_add_nc_u32_e32 v15, 0x200, v47
	v_cmp_gt_u16_e64 s0, 34, v38
	ds_load_2addr_b32 v[2:3], v47 offset1:51
	ds_load_2addr_b32 v[0:1], v47 offset0:102 offset1:187
	ds_load_2addr_b32 v[6:7], v4 offset0:118 offset1:169
	;; [unrolled: 1-line block ×3, first 2 shown]
	ds_load_b32 v13, v47 offset:1904
	s_and_saveexec_b32 s1, s0
	s_cbranch_execz .LBB0_9
; %bb.8:
	ds_load_2addr_b32 v[23:24], v15 offset0:25 offset1:212
	ds_load_b32 v71, v47 offset:2108
	s_wait_dscnt 0x1
	v_lshrrev_b32_e32 v68, 16, v23
	v_lshrrev_b32_e32 v75, 16, v24
	s_wait_dscnt 0x0
	v_lshrrev_b32_e32 v74, 16, v71
.LBB0_9:
	s_wait_alu 0xfffe
	s_or_b32 exec_lo, exec_lo, s1
	v_and_b32_e32 v15, 0xff, v38
	v_add_nc_u16 v16, v38, 51
	v_add_nc_u16 v17, v38, 0x66
	v_add_nc_u16 v18, v38, 0x99
	s_wait_dscnt 0x3
	v_lshrrev_b32_e32 v34, 16, v1
	v_mul_lo_u16 v15, 0xf1, v15
	v_and_b32_e32 v19, 0xff, v16
	v_and_b32_e32 v20, 0xff, v17
	s_wait_dscnt 0x2
	v_lshrrev_b32_e32 v35, 16, v6
	s_wait_dscnt 0x1
	v_lshrrev_b32_e32 v40, 16, v4
	v_lshrrev_b16 v26, 12, v15
	v_and_b32_e32 v15, 0xff, v18
	v_mul_lo_u16 v19, 0xf1, v19
	v_mul_lo_u16 v20, 0xf1, v20
	v_lshrrev_b32_e32 v61, 16, v7
	v_mul_lo_u16 v21, v26, 17
	v_mul_lo_u16 v15, 0xf1, v15
	v_lshrrev_b16 v27, 12, v19
	v_lshrrev_b16 v28, 12, v20
	v_lshrrev_b32_e32 v62, 16, v5
	v_sub_nc_u16 v29, v38, v21
	v_lshrrev_b16 v30, 12, v15
	v_mul_lo_u16 v15, v27, 17
	v_mul_lo_u16 v19, v28, 17
	v_and_b32_e32 v27, 0xffff, v27
	v_lshlrev_b16 v20, 1, v29
	v_mul_lo_u16 v21, v30, 17
	v_sub_nc_u16 v15, v16, v15
	v_sub_nc_u16 v16, v17, v19
	v_mad_u16 v26, v26, 51, v29
	v_and_b32_e32 v17, 0xfe, v20
	v_sub_nc_u16 v18, v18, v21
	v_and_b32_e32 v31, 0xff, v15
	v_and_b32_e32 v32, 0xff, v16
	;; [unrolled: 1-line block ×3, first 2 shown]
	v_lshlrev_b32_e32 v15, 2, v17
	v_and_b32_e32 v48, 0xff, v18
	v_lshlrev_b32_e32 v16, 3, v31
	v_lshlrev_b32_e32 v17, 3, v32
	v_and_b32_e32 v26, 0xff, v26
	global_load_b64 v[21:22], v15, s[2:3]
	v_lshlrev_b32_e32 v15, 3, v48
	v_mul_u32_u24_e32 v27, 51, v27
	s_clause 0x2
	global_load_b64 v[19:20], v16, s[2:3]
	global_load_b64 v[17:18], v17, s[2:3]
	;; [unrolled: 1-line block ×3, first 2 shown]
	v_mul_u32_u24_e32 v28, 51, v28
	s_wait_dscnt 0x0
	v_lshrrev_b32_e32 v63, 16, v13
	v_and_b32_e32 v49, 0xffff, v30
	v_add_lshl_u32 v52, v25, v26, 2
	v_add_nc_u32_e32 v26, v27, v31
	v_add_nc_u32_e32 v27, v28, v32
	v_lshrrev_b32_e32 v33, 16, v2
	v_lshrrev_b32_e32 v36, 16, v3
	;; [unrolled: 1-line block ×3, first 2 shown]
	v_add_lshl_u32 v54, v25, v26, 2
	v_add_lshl_u32 v53, v25, v27, 2
	s_load_b128 s[4:7], s[4:5], 0x0
	global_wb scope:SCOPE_SE
	s_wait_loadcnt 0x0
	s_wait_kmcnt 0x0
	s_barrier_signal -1
	s_barrier_wait -1
	global_inv scope:SCOPE_SE
	v_lshrrev_b32_e32 v60, 16, v21
	v_lshrrev_b32_e32 v59, 16, v22
	;; [unrolled: 1-line block ×8, first 2 shown]
	v_mul_f16_e32 v28, v34, v60
	v_mul_f16_e32 v30, v1, v60
	;; [unrolled: 1-line block ×16, first 2 shown]
	v_fma_f16 v28, v1, v21, -v28
	v_fmac_f16_e32 v30, v34, v21
	v_fma_f16 v31, v6, v22, -v31
	v_fmac_f16_e32 v32, v35, v22
	;; [unrolled: 2-line block ×8, first 2 shown]
	v_add_f16_e32 v24, v2, v28
	v_add_f16_e32 v34, v28, v31
	v_sub_f16_e32 v35, v30, v32
	v_add_f16_e32 v40, v33, v30
	v_add_f16_e32 v30, v30, v32
	v_add_f16_e32 v62, v6, v7
	v_sub_f16_e32 v63, v65, v67
	v_add_f16_e32 v64, v36, v65
	v_add_f16_e32 v65, v65, v67
	v_add_f16_e32 v71, v5, v13
	v_sub_f16_e32 v72, v70, v73
	v_add_f16_e32 v74, v29, v70
	v_add_f16_e32 v70, v70, v73
	v_sub_f16_e32 v28, v28, v31
	v_add_f16_e32 v61, v3, v6
	v_add_f16_e32 v76, v4, v1
	;; [unrolled: 1-line block ×4, first 2 shown]
	v_fma_f16 v31, -0.5, v34, v2
	v_fmac_f16_e32 v33, -0.5, v30
	v_sub_f16_e32 v66, v6, v7
	v_fmac_f16_e32 v3, -0.5, v62
	v_fmac_f16_e32 v36, -0.5, v65
	v_add_f16_e32 v69, v0, v5
	v_sub_f16_e32 v75, v5, v13
	v_fmac_f16_e32 v0, -0.5, v71
	v_fmac_f16_e32 v29, -0.5, v70
	v_sub_f16_e32 v5, v27, v26
	v_sub_f16_e32 v6, v4, v1
	v_add_f16_e32 v32, v40, v32
	v_add_f16_e32 v30, v61, v7
	;; [unrolled: 1-line block ×3, first 2 shown]
	v_fma_f16 v2, -0.5, v76, v23
	v_fma_f16 v7, -0.5, v77, v68
	v_fmamk_f16 v62, v35, 0x3aee, v31
	v_fmac_f16_e32 v31, 0xbaee, v35
	v_fmamk_f16 v35, v28, 0xbaee, v33
	v_fmac_f16_e32 v33, 0x3aee, v28
	;; [unrolled: 2-line block ×4, first 2 shown]
	v_add_f16_e32 v40, v69, v13
	v_add_f16_e32 v61, v74, v73
	v_fmamk_f16 v64, v72, 0x3aee, v0
	v_fmamk_f16 v65, v75, 0xbaee, v29
	v_fmac_f16_e32 v0, 0xbaee, v72
	v_fmac_f16_e32 v29, 0x3aee, v75
	v_fmamk_f16 v13, v5, 0xbaee, v2
	v_fmamk_f16 v71, v6, 0x3aee, v7
	v_pack_b32_f16 v24, v24, v32
	v_pack_b32_f16 v30, v30, v34
	;; [unrolled: 1-line block ×9, first 2 shown]
	ds_store_2addr_b32 v52, v24, v34 offset1:17
	ds_store_b32 v52, v31 offset:136
	ds_store_2addr_b32 v54, v30, v28 offset1:17
	ds_store_b32 v54, v3 offset:136
	;; [unrolled: 2-line block ×3, first 2 shown]
	s_and_saveexec_b32 s1, s0
	s_cbranch_execz .LBB0_11
; %bb.10:
	v_mul_f16_e32 v0, 0x3aee, v6
	v_add_f16_e32 v3, v68, v27
	v_mul_u32_u24_e32 v6, 51, v49
	v_add_f16_e32 v4, v23, v4
	v_mul_f16_e32 v5, 0x3aee, v5
	v_sub_f16_e32 v0, v7, v0
	v_add_f16_e32 v3, v3, v26
	v_add_nc_u32_e32 v6, v6, v48
	v_add_f16_e32 v1, v4, v1
	v_add_f16_e32 v2, v5, v2
	s_delay_alu instid0(VALU_DEP_3) | instskip(NEXT) | instid1(VALU_DEP_3)
	v_add_lshl_u32 v4, v25, v6, 2
	v_pack_b32_f16 v1, v1, v3
	s_delay_alu instid0(VALU_DEP_3)
	v_pack_b32_f16 v0, v2, v0
	v_perm_b32 v2, v71, v13, 0x5040100
	ds_store_2addr_b32 v4, v1, v0 offset1:17
	ds_store_b32 v4, v2 offset:136
.LBB0_11:
	s_wait_alu 0xfffe
	s_or_b32 exec_lo, exec_lo, s1
	v_mad_co_u64_u32 v[23:24], null, v38, 40, s[2:3]
	global_wb scope:SCOPE_SE
	s_wait_dscnt 0x0
	s_barrier_signal -1
	s_barrier_wait -1
	global_inv scope:SCOPE_SE
	v_add_nc_u32_e32 v29, 0x200, v47
	v_add_nc_u32_e32 v33, 0x400, v47
	s_clause 0x2
	global_load_b128 v[4:7], v[23:24], off offset:136
	global_load_b128 v[0:3], v[23:24], off offset:152
	global_load_b64 v[23:24], v[23:24], off offset:168
	ds_load_2addr_b32 v[25:26], v47 offset1:51
	ds_load_b32 v72, v47 offset:408
	ds_load_2addr_b32 v[27:28], v47 offset0:153 offset1:204
	ds_load_2addr_b32 v[29:30], v29 offset0:127 offset1:178
	;; [unrolled: 1-line block ×4, first 2 shown]
	v_lshl_add_u32 v40, v38, 2, v39
	s_delay_alu instid0(VALU_DEP_1)
	v_add_nc_u32_e32 v35, 0x200, v40
	v_add_nc_u32_e32 v36, 0x400, v40
	s_wait_dscnt 0x3
	v_lshrrev_b32_e32 v76, 16, v27
	v_lshrrev_b32_e32 v74, 16, v26
	;; [unrolled: 1-line block ×3, first 2 shown]
	s_wait_dscnt 0x0
	v_lshrrev_b32_e32 v82, 16, v33
	v_lshrrev_b32_e32 v83, 16, v34
	;; [unrolled: 1-line block ×8, first 2 shown]
	s_wait_loadcnt 0x2
	v_lshrrev_b32_e32 v69, 16, v4
	v_lshrrev_b32_e32 v70, 16, v5
	s_wait_loadcnt 0x1
	v_lshrrev_b32_e32 v66, 16, v0
	s_wait_loadcnt 0x0
	v_lshrrev_b32_e32 v61, 16, v23
	v_lshrrev_b32_e32 v62, 16, v24
	v_mul_f16_e32 v84, v74, v69
	v_mul_f16_e32 v85, v26, v69
	v_lshrrev_b32_e32 v68, 16, v6
	v_lshrrev_b32_e32 v67, 16, v7
	;; [unrolled: 1-line block ×5, first 2 shown]
	v_mul_f16_e32 v86, v75, v70
	v_mul_f16_e32 v87, v72, v70
	;; [unrolled: 1-line block ×6, first 2 shown]
	v_fma_f16 v26, v26, v4, -v84
	v_fmac_f16_e32 v85, v74, v4
	v_mul_f16_e32 v88, v76, v68
	v_mul_f16_e32 v89, v27, v68
	;; [unrolled: 1-line block ×12, first 2 shown]
	v_fma_f16 v72, v72, v5, -v86
	v_fmac_f16_e32 v87, v75, v5
	v_fmac_f16_e32 v93, v78, v0
	v_fma_f16 v78, v33, v23, -v100
	v_fma_f16 v84, v34, v24, -v102
	v_fmac_f16_e32 v103, v83, v24
	v_add_f16_e32 v33, v25, v26
	v_add_f16_e32 v34, v73, v85
	v_fma_f16 v27, v27, v6, -v88
	v_fmac_f16_e32 v89, v76, v6
	v_fma_f16 v28, v28, v7, -v90
	v_fmac_f16_e32 v91, v77, v7
	v_fma_f16 v29, v29, v0, -v92
	v_fma_f16 v30, v30, v1, -v94
	v_fmac_f16_e32 v95, v79, v1
	v_fma_f16 v31, v31, v2, -v96
	v_fmac_f16_e32 v97, v80, v2
	;; [unrolled: 2-line block ×3, first 2 shown]
	v_fmac_f16_e32 v101, v82, v23
	v_add_f16_e32 v74, v26, v84
	v_sub_f16_e32 v26, v26, v84
	v_sub_f16_e32 v76, v85, v103
	v_add_f16_e32 v33, v33, v72
	v_add_f16_e32 v34, v34, v87
	;; [unrolled: 1-line block ×5, first 2 shown]
	v_sub_f16_e32 v80, v72, v78
	v_sub_f16_e32 v81, v87, v101
	v_add_f16_e32 v82, v27, v32
	v_sub_f16_e32 v85, v27, v32
	v_sub_f16_e32 v86, v89, v99
	;; [unrolled: 1-line block ×6, first 2 shown]
	v_mul_f16_e32 v72, 0xb853, v76
	v_mul_f16_e32 v87, 0xb853, v26
	;; [unrolled: 1-line block ×10, first 2 shown]
	v_add_f16_e32 v27, v33, v27
	v_add_f16_e32 v33, v34, v89
	;; [unrolled: 1-line block ×7, first 2 shown]
	v_mul_f16_e32 v110, 0xbb47, v81
	v_mul_f16_e32 v111, 0xbb47, v80
	;; [unrolled: 1-line block ×22, first 2 shown]
	v_mul_f16_e64 v128, 0x3beb, v94
	v_mul_f16_e64 v129, 0x3beb, v92
	;; [unrolled: 1-line block ×6, first 2 shown]
	v_mul_f16_e32 v94, 0x3b47, v94
	v_mul_f16_e32 v92, 0x3b47, v92
	v_mul_f16_e64 v134, 0xb482, v102
	v_mul_f16_e64 v135, 0xb482, v100
	;; [unrolled: 1-line block ×8, first 2 shown]
	v_mul_f16_e32 v102, 0xbbeb, v102
	v_mul_f16_e32 v100, 0xbbeb, v100
	v_fma_f16 v34, v74, 0x3abb, -v72
	v_fmamk_f16 v89, v75, 0x3abb, v87
	v_fmac_f16_e32 v72, 0x3abb, v74
	v_fma_f16 v87, v75, 0x3abb, -v87
	v_fma_f16 v142, v74, 0x36a6, -v104
	v_fma_f16 v143, 0x36a6, v75, v105
	v_fmac_f16_e32 v104, 0x36a6, v74
	v_fma_f16 v105, v75, 0x36a6, -v105
	v_fma_f16 v144, v74, 0xb08e, -v106
	v_fma_f16 v145, 0xb08e, v75, v107
	;; [unrolled: 4-line block ×4, first 2 shown]
	v_add_f16_e32 v27, v27, v28
	v_add_f16_e32 v28, v33, v91
	v_fmac_f16_e32 v76, 0xbbad, v74
	v_fma_f16 v26, v75, 0xbbad, -v26
	v_fma_f16 v74, v77, 0x36a6, -v110
	v_fmamk_f16 v75, v79, 0x36a6, v111
	v_fmac_f16_e32 v110, 0x36a6, v77
	v_fma_f16 v111, v79, 0x36a6, -v111
	v_fma_f16 v150, v77, 0xb93d, -v112
	v_fma_f16 v151, 0xb93d, v79, v113
	v_fmac_f16_e32 v112, 0xb93d, v77
	v_fma_f16 v113, v79, 0xb93d, -v113
	v_fma_f16 v152, v77, 0xbbad, -v114
	v_fma_f16 v153, 0xbbad, v79, v115
	v_fmac_f16_e32 v114, 0xbbad, v77
	v_fma_f16 v115, v79, 0xbbad, -v115
	v_fma_f16 v154, v77, 0xb08e, -v116
	v_fma_f16 v155, 0xb08e, v79, v117
	v_fmac_f16_e32 v116, 0xb08e, v77
	v_fma_f16 v117, v79, 0xb08e, -v117
	v_fma_f16 v156, v77, 0x3abb, -v81
	v_fma_f16 v157, 0x3abb, v79, v80
	v_fmac_f16_e32 v81, 0x3abb, v77
	v_fma_f16 v77, v79, 0x3abb, -v80
	v_fma_f16 v79, v82, 0xb08e, -v118
	v_fmamk_f16 v80, v83, 0xb08e, v119
	v_fmac_f16_e32 v118, 0xb08e, v82
	v_fma_f16 v119, v83, 0xb08e, -v119
	v_fma_f16 v158, v82, 0xbbad, -v120
	v_fma_f16 v159, 0xbbad, v83, v121
	v_fmac_f16_e32 v120, 0xbbad, v82
	v_fma_f16 v121, v83, 0xbbad, -v121
	v_fma_f16 v160, v82, 0x36a6, -v122
	v_fma_f16 v161, 0x36a6, v83, v123
	;; [unrolled: 4-line block ×4, first 2 shown]
	v_fmac_f16_e32 v86, 0xb93d, v82
	v_fma_f16 v82, v83, 0xb93d, -v85
	v_fma_f16 v83, v88, 0xb93d, -v126
	v_fmamk_f16 v85, v90, 0xb93d, v127
	v_fmac_f16_e32 v126, 0xb93d, v88
	v_fma_f16 v127, v90, 0xb93d, -v127
	v_fma_f16 v166, v88, 0xb08e, -v128
	v_fma_f16 v167, 0xb08e, v90, v129
	v_fmac_f16_e64 v128, 0xb08e, v88
	v_fma_f16 v129, v90, 0xb08e, -v129
	v_fma_f16 v168, v88, 0x3abb, -v130
	v_fma_f16 v169, 0x3abb, v90, v131
	v_fmac_f16_e64 v130, 0x3abb, v88
	;; [unrolled: 4-line block ×3, first 2 shown]
	v_fma_f16 v133, v90, 0xbbad, -v133
	v_fma_f16 v172, v88, 0x36a6, -v94
	v_fma_f16 v173, 0x36a6, v90, v92
	v_fmac_f16_e32 v94, 0x36a6, v88
	v_fma_f16 v88, v90, 0x36a6, -v92
	v_fma_f16 v90, v96, 0xbbad, -v134
	v_fma_f16 v92, 0xbbad, v98, v135
	v_fmac_f16_e64 v134, 0xbbad, v96
	v_fma_f16 v135, v98, 0xbbad, -v135
	v_fma_f16 v174, v96, 0x3abb, -v136
	v_fma_f16 v175, 0x3abb, v98, v137
	v_fmac_f16_e64 v136, 0x3abb, v96
	v_fma_f16 v137, v98, 0x3abb, -v137
	v_fma_f16 v176, v96, 0xb93d, -v138
	v_fma_f16 v177, 0xb93d, v98, v139
	v_fmac_f16_e64 v138, 0xb93d, v96
	v_fma_f16 v139, v98, 0xb93d, -v139
	v_fma_f16 v178, v96, 0x36a6, -v140
	v_fma_f16 v179, 0x36a6, v98, v141
	v_fmac_f16_e64 v140, 0x36a6, v96
	v_fma_f16 v141, v98, 0x36a6, -v141
	v_fma_f16 v180, v96, 0xb08e, -v102
	v_fma_f16 v181, 0xb08e, v98, v100
	v_fmac_f16_e32 v102, 0xb08e, v96
	v_fma_f16 v96, v98, 0xb08e, -v100
	v_add_f16_e32 v33, v25, v34
	v_add_f16_e32 v34, v73, v89
	;; [unrolled: 1-line block ×4, first 2 shown]
	v_add_f16_e64 v89, v25, v142
	v_add_f16_e64 v91, v73, v143
	v_add_f16_e32 v98, v25, v104
	v_add_f16_e32 v100, v73, v105
	v_add_f16_e64 v104, v25, v144
	v_add_f16_e64 v105, v73, v145
	v_add_f16_e32 v106, v25, v106
	v_add_f16_e32 v107, v73, v107
	v_add_f16_e64 v143, v73, v147
	v_add_f16_e32 v108, v25, v108
	v_add_f16_e32 v109, v73, v109
	v_add_f16_e64 v144, v25, v148
	v_add_f16_e64 v145, v73, v149
	v_add_f16_e32 v27, v27, v29
	v_add_f16_e32 v28, v28, v93
	v_add_f16_e64 v142, v25, v146
	v_add_f16_e32 v25, v25, v76
	v_add_f16_e32 v26, v73, v26
	;; [unrolled: 1-line block ×6, first 2 shown]
	v_add_f16_e64 v73, v150, v89
	v_add_f16_e64 v74, v151, v91
	v_add_f16_e32 v75, v112, v98
	v_add_f16_e32 v76, v113, v100
	v_add_f16_e64 v87, v152, v104
	v_add_f16_e64 v89, v153, v105
	v_add_f16_e32 v91, v114, v106
	v_add_f16_e32 v93, v115, v107
	v_add_f16_e64 v100, v155, v143
	v_add_f16_e32 v104, v116, v108
	v_add_f16_e32 v105, v117, v109
	v_add_f16_e64 v106, v156, v144
	v_add_f16_e64 v107, v157, v145
	v_add_f16_e32 v27, v27, v30
	v_add_f16_e32 v28, v28, v95
	;; [unrolled: 1-line block ×8, first 2 shown]
	v_add_f16_e64 v72, v158, v73
	v_add_f16_e64 v73, v159, v74
	v_add_f16_e32 v74, v120, v75
	v_add_f16_e32 v75, v121, v76
	v_add_f16_e64 v76, v160, v87
	v_add_f16_e64 v77, v161, v89
	v_add_f16_e32 v79, v122, v91
	v_add_f16_e32 v80, v123, v93
	v_add_f16_e64 v87, v163, v100
	v_add_f16_e32 v89, v124, v104
	v_add_f16_e32 v91, v125, v105
	v_add_f16_e64 v93, v164, v106
	v_add_f16_e64 v95, v165, v107
	v_add_f16_e32 v27, v27, v31
	v_add_f16_e32 v28, v28, v97
	v_add_f16_e64 v98, v154, v142
	v_add_f16_e32 v25, v86, v25
	v_add_f16_e32 v31, v126, v33
	;; [unrolled: 1-line block ×3, first 2 shown]
	v_add_f16_e64 v34, v166, v72
	v_add_f16_e64 v72, v167, v73
	;; [unrolled: 1-line block ×8, first 2 shown]
	v_add_f16_e32 v95, v27, v32
	v_add_f16_e32 v97, v28, v99
	v_add_f16_e64 v81, v162, v98
	v_add_f16_e32 v26, v82, v26
	v_add_f16_e32 v94, v94, v25
	v_add_f16_e64 v82, v175, v72
	v_add_f16_e64 v25, v136, v73
	v_add_f16_e32 v72, v95, v78
	v_add_f16_e32 v73, v97, v101
	;; [unrolled: 1-line block ×4, first 2 shown]
	v_add_f16_e64 v76, v168, v76
	v_add_f16_e64 v77, v169, v77
	;; [unrolled: 1-line block ×5, first 2 shown]
	v_add_f16_e32 v88, v88, v26
	v_add_f16_e64 v75, v129, v75
	v_add_f16_e32 v72, v72, v84
	v_add_f16_e32 v73, v73, v103
	;; [unrolled: 1-line block ×4, first 2 shown]
	v_add_f16_e64 v28, v174, v34
	v_add_f16_e64 v26, v134, v31
	;; [unrolled: 1-line block ×11, first 2 shown]
	v_add_f16_e32 v34, v102, v94
	v_add_f16_e32 v78, v96, v88
	v_add_f16_e64 v29, v140, v87
	v_add_f16_e64 v77, v141, v89
	;; [unrolled: 1-line block ×3, first 2 shown]
	v_pack_b32_f16 v90, v72, v73
	v_pack_b32_f16 v85, v27, v83
	;; [unrolled: 1-line block ×11, first 2 shown]
	ds_store_b32 v40, v90
	ds_store_2addr_b32 v40, v85, v86 offset0:51 offset1:102
	ds_store_2addr_b32 v40, v84, v87 offset0:153 offset1:204
	ds_store_2addr_b32 v35, v88, v89 offset0:127 offset1:178
	ds_store_2addr_b32 v36, v91, v92 offset0:101 offset1:152
	ds_store_2addr_b32 v36, v93, v94 offset0:203 offset1:254
	global_wb scope:SCOPE_SE
	s_wait_dscnt 0x0
	s_barrier_signal -1
	s_barrier_wait -1
	global_inv scope:SCOPE_SE
	s_and_saveexec_b32 s1, vcc_lo
	s_cbranch_execz .LBB0_13
; %bb.12:
	global_load_b32 v84, v37, s[8:9] offset:2244
	s_add_nc_u64 s[2:3], s[8:9], 0x8c4
	s_clause 0xf
	global_load_b32 v100, v37, s[2:3] offset:132
	global_load_b32 v101, v37, s[2:3] offset:264
	;; [unrolled: 1-line block ×16, first 2 shown]
	ds_load_b32 v85, v40
	v_add_nc_u32_e32 v116, 0x600, v40
	s_wait_dscnt 0x0
	v_lshrrev_b32_e32 v86, 16, v85
	s_wait_loadcnt 0xf
	v_lshrrev_b32_e32 v117, 16, v100
	s_wait_loadcnt 0xe
	;; [unrolled: 2-line block ×12, first 2 shown]
	v_lshrrev_b32_e32 v128, 16, v111
	v_lshrrev_b32_e32 v87, 16, v84
	s_wait_loadcnt 0x3
	v_lshrrev_b32_e32 v129, 16, v112
	s_wait_loadcnt 0x2
	;; [unrolled: 2-line block ×4, first 2 shown]
	v_lshrrev_b32_e32 v132, 16, v115
	v_mul_f16_e32 v88, v86, v87
	v_mul_f16_e32 v87, v85, v87
	s_delay_alu instid0(VALU_DEP_2) | instskip(NEXT) | instid1(VALU_DEP_2)
	v_fma_f16 v85, v85, v84, -v88
	v_fmac_f16_e32 v87, v86, v84
	s_delay_alu instid0(VALU_DEP_1)
	v_pack_b32_f16 v84, v85, v87
	ds_store_b32 v40, v84
	ds_load_2addr_b32 v[84:85], v40 offset0:33 offset1:66
	ds_load_2addr_b32 v[86:87], v40 offset0:99 offset1:132
	;; [unrolled: 1-line block ×8, first 2 shown]
	s_wait_dscnt 0x7
	v_lshrrev_b32_e32 v133, 16, v84
	v_lshrrev_b32_e32 v135, 16, v85
	s_wait_dscnt 0x6
	v_lshrrev_b32_e32 v137, 16, v86
	v_lshrrev_b32_e32 v139, 16, v87
	s_wait_dscnt 0x5
	v_lshrrev_b32_e32 v141, 16, v88
	v_lshrrev_b32_e32 v143, 16, v89
	s_wait_dscnt 0x4
	v_lshrrev_b32_e32 v145, 16, v90
	v_lshrrev_b32_e32 v147, 16, v91
	s_wait_dscnt 0x3
	v_lshrrev_b32_e32 v149, 16, v92
	v_lshrrev_b32_e32 v151, 16, v93
	v_mul_f16_e64 v134, v84, v117
	v_mul_f16_e64 v136, v85, v118
	s_wait_dscnt 0x2
	v_lshrrev_b32_e32 v153, 16, v94
	v_lshrrev_b32_e32 v155, 16, v95
	s_wait_dscnt 0x1
	v_lshrrev_b32_e32 v157, 16, v96
	v_lshrrev_b32_e32 v159, 16, v97
	;; [unrolled: 3-line block ×3, first 2 shown]
	v_mul_f16_e64 v117, v133, v117
	v_mul_f16_e64 v118, v135, v118
	v_mul_f16_e64 v138, v86, v119
	v_mul_f16_e64 v140, v87, v120
	v_mul_f16_e64 v119, v137, v119
	v_mul_f16_e64 v120, v139, v120
	v_mul_f16_e64 v142, v88, v121
	v_mul_f16_e64 v144, v89, v122
	v_mul_f16_e64 v121, v141, v121
	v_mul_f16_e64 v122, v143, v122
	v_mul_f16_e64 v146, v90, v123
	v_mul_f16_e64 v148, v91, v124
	v_mul_f16_e64 v123, v145, v123
	v_mul_f16_e64 v124, v147, v124
	v_mul_f16_e64 v150, v92, v125
	v_mul_f16_e64 v152, v93, v126
	v_mul_f16_e64 v125, v149, v125
	v_mul_f16_e64 v126, v151, v126
	v_mul_f16_e64 v154, v94, v127
	v_mul_f16_e64 v156, v95, v128
	v_mul_f16_e64 v158, v96, v129
	v_mul_f16_e64 v160, v97, v130
	v_mul_f16_e64 v162, v98, v131
	v_mul_f16_e64 v164, v99, v132
	v_fmac_f16_e64 v134, v133, v100
	v_fmac_f16_e64 v136, v135, v101
	v_mul_f16_e64 v127, v153, v127
	v_mul_f16_e64 v128, v155, v128
	;; [unrolled: 1-line block ×6, first 2 shown]
	v_fma_f16 v84, v84, v100, -v117
	v_fma_f16 v85, v85, v101, -v118
	v_fmac_f16_e64 v138, v137, v102
	v_fmac_f16_e64 v140, v139, v103
	v_fma_f16 v86, v86, v102, -v119
	v_fma_f16 v87, v87, v103, -v120
	v_fmac_f16_e64 v142, v141, v104
	v_fmac_f16_e64 v144, v143, v105
	v_fma_f16 v88, v88, v104, -v121
	v_fma_f16 v89, v89, v105, -v122
	v_fmac_f16_e64 v146, v145, v106
	v_fmac_f16_e64 v148, v147, v107
	v_fma_f16 v90, v90, v106, -v123
	v_fma_f16 v91, v91, v107, -v124
	v_fmac_f16_e64 v150, v149, v108
	v_fmac_f16_e64 v152, v151, v109
	v_fma_f16 v92, v92, v108, -v125
	v_fma_f16 v93, v93, v109, -v126
	v_fmac_f16_e64 v154, v153, v110
	v_fmac_f16_e64 v156, v155, v111
	v_fmac_f16_e64 v158, v157, v112
	v_fmac_f16_e64 v160, v159, v113
	;; [unrolled: 1-line block ×4, first 2 shown]
	v_fma_f16 v94, v94, v110, -v127
	v_fma_f16 v95, v95, v111, -v128
	;; [unrolled: 1-line block ×6, first 2 shown]
	v_pack_b32_f16 v84, v84, v134
	v_pack_b32_f16 v85, v85, v136
	;; [unrolled: 1-line block ×16, first 2 shown]
	ds_store_2addr_b32 v40, v84, v85 offset0:33 offset1:66
	ds_store_2addr_b32 v40, v86, v87 offset0:99 offset1:132
	;; [unrolled: 1-line block ×8, first 2 shown]
.LBB0_13:
	s_wait_alu 0xfffe
	s_or_b32 exec_lo, exec_lo, s1
	global_wb scope:SCOPE_SE
	s_wait_dscnt 0x0
	s_barrier_signal -1
	s_barrier_wait -1
	global_inv scope:SCOPE_SE
	s_and_saveexec_b32 s1, vcc_lo
	s_cbranch_execz .LBB0_15
; %bb.14:
	v_add_nc_u32_e32 v9, 0x200, v40
	v_add_nc_u32_e32 v10, 0x400, v40
	ds_load_b32 v72, v40
	ds_load_2addr_b32 v[27:28], v40 offset0:33 offset1:66
	ds_load_2addr_b32 v[31:32], v40 offset0:99 offset1:132
	;; [unrolled: 1-line block ×5, first 2 shown]
	v_add_nc_u32_e32 v9, 0x600, v40
	ds_load_2addr_b32 v[13:14], v10 offset0:107 offset1:140
	ds_load_2addr_b32 v[11:12], v10 offset0:173 offset1:206
	ds_load_2addr_b32 v[9:10], v9 offset0:111 offset1:144
	s_wait_dscnt 0x8
	v_lshrrev_b32_e32 v73, 16, v72
	s_wait_dscnt 0x7
	v_lshrrev_b32_e32 v83, 16, v27
	v_lshrrev_b32_e32 v82, 16, v28
	s_wait_dscnt 0x6
	v_lshrrev_b32_e32 v81, 16, v31
	;; [unrolled: 3-line block ×8, first 2 shown]
	v_lshrrev_b32_e32 v45, 16, v10
.LBB0_15:
	s_wait_alu 0xfffe
	s_or_b32 exec_lo, exec_lo, s1
	s_delay_alu instid0(VALU_DEP_1)
	v_sub_f16_e32 v104, v83, v45
	v_add_f16_e32 v110, v45, v83
	v_add_f16_e32 v88, v10, v27
	v_sub_f16_e32 v90, v27, v10
	v_sub_f16_e32 v105, v82, v42
	v_mul_f16_e32 v113, 0xba62, v104
	v_mul_f16_e32 v111, 0xb8d2, v110
	v_add_f16_e32 v114, v42, v82
	v_mul_f16_e32 v108, 0xb836, v104
	v_mul_f16_e32 v106, 0xbacd, v110
	v_fma_f16 v35, v88, 0xb8d2, -v113
	v_fmamk_f16 v36, v90, 0xba62, v111
	v_mul_f16_e64 v134, 0xb1e1, v104
	v_add_f16_e32 v89, v9, v28
	v_sub_f16_e32 v91, v28, v9
	v_mul_f16_e32 v118, 0x3bb2, v105
	v_mul_f16_e32 v126, 0xb461, v114
	v_fma_f16 v84, v88, 0xbacd, -v108
	v_fmamk_f16 v85, v90, 0xb836, v106
	v_add_f16_e32 v35, v72, v35
	v_add_f16_e32 v36, v73, v36
	v_fma_f16 v86, v88, 0xbbdd, -v134
	v_mul_f16_e64 v141, 0xbbdd, v110
	v_mul_f16_e64 v129, 0x3b29, v105
	;; [unrolled: 1-line block ×3, first 2 shown]
	v_fma_f16 v92, v89, 0xb461, -v118
	v_fmamk_f16 v93, v91, 0x3bb2, v126
	v_mul_f16_e64 v140, 0x35c8, v105
	v_sub_f16_e32 v107, v81, v43
	v_add_f16_e32 v84, v72, v84
	v_add_f16_e32 v85, v73, v85
	;; [unrolled: 1-line block ×3, first 2 shown]
	v_fma_f16 v87, 0xb1e1, v90, v141
	v_fma_f16 v94, v89, 0x3722, -v129
	v_fma_f16 v95, 0x3b29, v91, v131
	v_add_f16_e32 v35, v92, v35
	v_add_f16_e32 v36, v93, v36
	v_mul_f16_e64 v149, 0x3b76, v114
	v_fma_f16 v93, v89, 0x3b76, -v140
	v_add_f16_e32 v92, v12, v31
	v_add_f16_e32 v116, v43, v81
	v_mul_f16_e32 v122, 0xb5c8, v107
	v_add_f16_e32 v87, v73, v87
	v_add_f16_e32 v84, v94, v84
	;; [unrolled: 1-line block ×3, first 2 shown]
	v_fma_f16 v94, 0x35c8, v91, v149
	v_add_f16_e32 v86, v93, v86
	v_sub_f16_e32 v93, v31, v12
	v_mul_f16_e64 v128, 0x3b76, v116
	v_fma_f16 v95, v92, 0x3b76, -v122
	v_mul_f16_e64 v133, 0xbbf7, v107
	v_add_f16_e32 v87, v94, v87
	v_mul_f16_e64 v147, 0xb836, v107
	v_fma_f16 v94, 0xb5c8, v93, v128
	v_add_f16_e32 v35, v95, v35
	v_fma_f16 v95, v92, 0x2de8, -v133
	v_mul_f16_e64 v154, 0xbacd, v116
	v_mul_f16_e64 v136, 0x2de8, v116
	v_add_f16_e32 v36, v94, v36
	v_fma_f16 v94, v92, 0xbacd, -v147
	v_add_f16_e32 v84, v95, v84
	v_sub_f16_e32 v109, v80, v44
	v_fma_f16 v95, 0xb836, v93, v154
	v_add_f16_e32 v119, v44, v80
	v_fma_f16 v96, 0xbbf7, v93, v136
	v_add_f16_e32 v86, v94, v86
	v_add_f16_e32 v94, v11, v32
	v_mul_f16_e32 v127, 0xb836, v109
	v_add_f16_e32 v87, v95, v87
	v_sub_f16_e32 v95, v32, v11
	v_mul_f16_e64 v132, 0xbacd, v119
	v_add_f16_e32 v85, v96, v85
	v_mul_f16_e64 v138, 0x3a62, v109
	v_fma_f16 v96, v94, 0xbacd, -v127
	v_mul_f16_e64 v142, 0xb8d2, v119
	v_mul_f16_e64 v152, 0x3964, v109
	v_fma_f16 v97, 0xb836, v95, v132
	v_add_f16_e32 v123, v46, v79
	v_fma_f16 v98, v94, 0xb8d2, -v138
	v_add_f16_e32 v35, v96, v35
	v_fma_f16 v96, 0x3a62, v95, v142
	v_fma_f16 v99, v94, 0x39e9, -v152
	v_add_f16_e32 v36, v97, v36
	v_mul_f16_e64 v157, 0x39e9, v119
	v_sub_f16_e32 v112, v79, v46
	v_sub_f16_e32 v97, v33, v14
	v_mul_f16_e64 v137, 0x2de8, v123
	v_add_f16_e32 v84, v98, v84
	v_add_f16_e32 v85, v96, v85
	;; [unrolled: 1-line block ×3, first 2 shown]
	v_fma_f16 v98, 0x3964, v95, v157
	v_add_f16_e32 v96, v14, v33
	v_mul_f16_e64 v130, 0x3bf7, v112
	v_mul_f16_e64 v148, 0x3b76, v123
	v_fma_f16 v99, 0x3bf7, v97, v137
	v_add_f16_e32 v121, v71, v78
	v_mul_f16_e64 v145, 0xb5c8, v112
	v_add_f16_e32 v87, v98, v87
	v_fma_f16 v98, v96, 0x2de8, -v130
	v_mul_f16_e64 v156, 0xba62, v112
	v_fma_f16 v101, 0xb5c8, v97, v148
	v_add_f16_e32 v36, v99, v36
	v_sub_f16_e32 v99, v34, v13
	v_mul_f16_e64 v151, 0xbbdd, v121
	v_fma_f16 v100, v96, 0x3b76, -v145
	v_add_f16_e32 v35, v98, v35
	v_fma_f16 v98, v96, 0xb8d2, -v156
	v_add_f16_e32 v85, v101, v85
	v_mul_f16_e64 v160, 0xb8d2, v123
	v_sub_f16_e32 v115, v78, v71
	v_fma_f16 v117, 0xb1e1, v99, v151
	v_add_f16_e32 v84, v100, v84
	v_add_f16_e32 v86, v98, v86
	;; [unrolled: 1-line block ×3, first 2 shown]
	v_mul_f16_e64 v135, 0xb964, v115
	v_mul_f16_e64 v144, 0x39e9, v121
	v_fma_f16 v100, 0xba62, v97, v160
	v_add_f16_e32 v85, v117, v85
	v_sub_f16_e32 v117, v77, v74
	v_mul_f16_e64 v150, 0xb1e1, v115
	v_fma_f16 v101, v98, 0x39e9, -v135
	v_fma_f16 v102, 0xb964, v99, v144
	v_add_f16_e32 v87, v100, v87
	v_mul_f16_e64 v161, 0x3b29, v115
	v_add_f16_e32 v124, v74, v77
	v_add_f16_e32 v100, v26, v29
	v_mul_f16_e64 v139, 0xb1e1, v117
	v_fma_f16 v103, v98, 0xbbdd, -v150
	v_add_f16_e32 v35, v101, v35
	v_add_f16_e32 v36, v102, v36
	v_mul_f16_e64 v164, 0x3722, v121
	v_sub_f16_e32 v101, v29, v26
	v_mul_f16_e64 v146, 0xbbdd, v124
	v_fma_f16 v102, v98, 0x3722, -v161
	v_mul_f16_e64 v155, 0x3964, v117
	v_fma_f16 v120, v100, 0xbbdd, -v139
	v_add_f16_e32 v84, v103, v84
	v_fma_f16 v103, 0x3b29, v99, v164
	v_fma_f16 v125, 0xb1e1, v101, v146
	v_add_f16_e32 v86, v102, v86
	v_fma_f16 v102, v100, 0x39e9, -v155
	v_add_f16_e32 v35, v120, v35
	v_mul_f16_e64 v158, 0x39e9, v124
	v_sub_f16_e32 v120, v76, v75
	v_mul_f16_e64 v163, 0xbbb2, v117
	v_mul_f16_e64 v166, 0xb461, v124
	v_add_f16_e32 v87, v103, v87
	v_add_f16_e64 v168, v125, v36
	v_add_f16_e32 v84, v102, v84
	v_fma_f16 v36, 0x3964, v101, v158
	v_add_f16_e32 v102, v25, v30
	v_mul_f16_e64 v143, 0x3b29, v120
	v_fma_f16 v103, v100, 0xb461, -v163
	v_fma_f16 v153, 0xbbb2, v101, v166
	v_add_f16_e32 v125, v75, v76
	v_add_f16_e32 v85, v36, v85
	v_fma_f16 v36, v102, 0x3722, -v143
	v_add_f16_e64 v169, v103, v86
	v_add_f16_e64 v170, v153, v87
	v_sub_f16_e32 v103, v30, v25
	v_mul_f16_e64 v153, 0x3722, v125
	v_mul_f16_e64 v159, 0xbbb2, v120
	;; [unrolled: 1-line block ×5, first 2 shown]
	v_add_f16_e32 v36, v36, v35
	v_fma_f16 v35, 0x3b29, v103, v153
	v_fma_f16 v86, v102, 0xb461, -v159
	v_fma_f16 v171, 0xbbb2, v103, v162
	v_fma_f16 v172, v102, 0x2de8, -v165
	v_fma_f16 v173, 0x3bf7, v103, v167
	v_add_f16_e64 v87, v35, v168
	v_add_f16_e32 v35, v86, v84
	v_add_f16_e64 v86, v171, v85
	v_add_f16_e64 v84, v172, v169
	v_add_f16_e64 v85, v173, v170
	global_wb scope:SCOPE_SE
	s_barrier_signal -1
	s_barrier_wait -1
	global_inv scope:SCOPE_SE
	s_and_saveexec_b32 s1, vcc_lo
	s_cbranch_execz .LBB0_17
; %bb.16:
	v_mul_f16_e64 v173, 0xb1e1, v90
	v_mul_f16_e64 v179, 0x35c8, v91
	;; [unrolled: 1-line block ×5, first 2 shown]
	v_sub_f16_e64 v141, v141, v173
	v_sub_f16_e64 v149, v149, v179
	v_mul_f16_e64 v178, 0x3b76, v89
	v_mul_f16_e64 v197, 0xba62, v97
	v_add_f16_e64 v134, v172, v134
	v_add_f16_e64 v141, v73, v141
	v_mul_f16_e64 v184, 0xbacd, v92
	v_mul_f16_e64 v201, 0x3b29, v99
	v_add_f16_e64 v140, v178, v140
	v_add_f16_e64 v134, v72, v134
	;; [unrolled: 1-line block ×3, first 2 shown]
	v_sub_f16_e64 v149, v154, v185
	v_mul_f16_e64 v171, 0xb836, v90
	v_mul_f16_e64 v190, 0x39e9, v94
	v_add_f16_e64 v134, v140, v134
	v_add_f16_e64 v140, v184, v147
	;; [unrolled: 1-line block ×3, first 2 shown]
	v_sub_f16_e64 v149, v157, v191
	v_mul_f16_e64 v157, 0xbbb2, v101
	v_sub_f16_e64 v147, v164, v201
	v_mul_f16_e64 v177, 0x3b29, v91
	v_mul_f16_e64 v196, 0xb8d2, v96
	v_add_f16_e64 v141, v149, v141
	v_sub_f16_e64 v149, v160, v197
	v_add_f16_e64 v134, v140, v134
	v_add_f16_e64 v140, v190, v152
	v_mul_f16_e64 v152, 0x3bf7, v103
	v_sub_f16_e64 v106, v106, v171
	v_add_f16_e64 v141, v149, v141
	v_mul_f16_e64 v170, 0xbacd, v88
	v_mul_f16_e64 v183, 0xbbf7, v93
	;; [unrolled: 1-line block ×3, first 2 shown]
	v_add_f16_e64 v134, v140, v134
	v_add_f16_e64 v141, v147, v141
	v_sub_f16_e64 v147, v166, v157
	v_add_f16_e64 v140, v196, v156
	v_sub_f16_e64 v131, v131, v177
	v_mul_f16_e64 v176, 0x3722, v89
	v_mul_f16_e64 v189, 0x3a62, v95
	v_add_f16_e64 v141, v147, v141
	v_sub_f16_e64 v147, v167, v152
	v_add_f16_e64 v152, v73, v106
	v_mul_f16_e64 v204, 0xb461, v100
	v_add_f16_e64 v134, v140, v134
	v_add_f16_e64 v140, v179, v161
	;; [unrolled: 1-line block ×4, first 2 shown]
	v_sub_f16_e64 v136, v136, v183
	v_mul_f16_e64 v169, 0xba62, v90
	v_mul_f16_e64 v182, 0x2de8, v92
	;; [unrolled: 1-line block ×4, first 2 shown]
	v_add_f16_e64 v134, v140, v134
	v_add_f16_e64 v140, v204, v163
	v_add_f16_e32 v108, v72, v108
	v_add_f16_e64 v129, v176, v129
	v_add_f16_e64 v131, v136, v131
	v_sub_f16_e64 v136, v142, v189
	v_mul_f16_e64 v175, 0x3bb2, v91
	v_mul_f16_e64 v188, 0xb8d2, v94
	v_mul_f16_e64 v200, 0xb1e1, v99
	v_add_f16_e64 v134, v140, v134
	v_add_f16_e64 v140, v164, v165
	;; [unrolled: 1-line block ×5, first 2 shown]
	v_sub_f16_e64 v136, v148, v195
	v_sub_f16_e64 v111, v111, v169
	v_mul_f16_e64 v181, 0xb5c8, v93
	v_mul_f16_e64 v194, 0x3b76, v96
	;; [unrolled: 1-line block ×3, first 2 shown]
	v_add_f16_e64 v108, v140, v134
	v_add_f16_e64 v129, v133, v129
	;; [unrolled: 1-line block ×4, first 2 shown]
	v_sub_f16_e64 v134, v151, v200
	v_add_f16_e32 v111, v73, v111
	v_sub_f16_e64 v126, v126, v175
	v_mul_f16_e64 v168, 0xb8d2, v88
	v_mul_f16_e64 v187, 0xb836, v95
	;; [unrolled: 1-line block ×4, first 2 shown]
	v_add_f16_e64 v129, v133, v129
	v_add_f16_e64 v133, v194, v145
	;; [unrolled: 1-line block ×3, first 2 shown]
	v_sub_f16_e64 v134, v158, v185
	v_add_f16_e32 v111, v126, v111
	v_sub_f16_e64 v126, v128, v181
	v_mul_f16_e64 v174, 0xb461, v89
	v_mul_f16_e64 v193, 0x3bf7, v97
	;; [unrolled: 1-line block ×3, first 2 shown]
	v_add_f16_e64 v128, v133, v129
	v_add_f16_e64 v129, v199, v150
	;; [unrolled: 1-line block ×3, first 2 shown]
	v_sub_f16_e64 v133, v162, v149
	v_add_f16_e32 v126, v126, v111
	v_sub_f16_e64 v132, v132, v187
	v_add_f16_e64 v113, v168, v113
	v_mul_f16_e64 v180, 0x3b76, v92
	v_mul_f16_e64 v198, 0xb964, v99
	;; [unrolled: 1-line block ×3, first 2 shown]
	v_add_f16_e64 v128, v129, v128
	v_add_f16_e64 v129, v154, v155
	;; [unrolled: 1-line block ×4, first 2 shown]
	v_sub_f16_e64 v131, v137, v193
	v_add_f16_e64 v132, v72, v113
	v_add_f16_e64 v118, v174, v118
	v_mul_f16_e64 v186, 0xbacd, v94
	v_mul_f16_e64 v203, 0xb1e1, v101
	v_add_f16_e64 v128, v129, v128
	v_add_f16_e64 v129, v178, v159
	;; [unrolled: 1-line block ×3, first 2 shown]
	v_sub_f16_e64 v131, v144, v198
	v_mul_f16_e64 v133, 0xb461, v110
	v_add_f16_e64 v118, v118, v132
	v_add_f16_e64 v122, v180, v122
	v_mul_f16_e64 v192, 0x2de8, v96
	v_add_f16_e64 v113, v129, v128
	v_add_f16_e64 v126, v131, v126
	v_sub_f16_e64 v128, v146, v203
	v_fma_f16 v129, 0x3bb2, v90, v133
	v_mul_f16_e64 v131, 0xbacd, v114
	v_add_f16_e32 v118, v122, v118
	v_add_f16_e64 v122, v186, v127
	v_mul_f16_e64 v173, 0x39e9, v98
	v_mul_f16_e64 v160, 0x3b29, v103
	v_add_f16_e64 v126, v128, v126
	v_add_f16_e64 v127, v73, v129
	v_fma_f16 v128, 0xb836, v91, v131
	v_mul_f16_e64 v132, 0x39e9, v116
	v_add_f16_e32 v118, v122, v118
	v_add_f16_e64 v122, v192, v130
	v_mul_f16_e64 v202, 0xbbdd, v100
	v_sub_f16_e64 v129, v153, v160
	v_add_f16_e64 v127, v128, v127
	v_fma_f16 v128, 0xb964, v93, v132
	v_mul_f16_e64 v130, 0x3722, v119
	v_add_f16_e32 v122, v122, v118
	v_add_f16_e64 v134, v173, v135
	v_add_f16_e64 v118, v129, v126
	;; [unrolled: 1-line block ×3, first 2 shown]
	v_fma_f16 v127, 0x3b29, v95, v130
	v_mul_f16_e64 v135, 0xbbdd, v123
	v_add_f16_e64 v122, v134, v122
	v_add_f16_e64 v128, v202, v139
	v_mul_f16_e64 v134, 0xbbb2, v104
	v_mul_f16_e64 v172, 0x3722, v102
	v_add_f16_e32 v126, v127, v126
	v_fma_f16 v127, 0x31e1, v97, v135
	v_mul_f16_e64 v136, 0x2de8, v121
	v_add_f16_e64 v122, v128, v122
	v_fma_f16 v128, 0xb461, v88, v134
	v_mul_f16_e64 v137, 0x3836, v105
	v_add_f16_e32 v126, v127, v126
	v_fma_f16 v127, 0xbbf7, v99, v136
	v_mul_f16_e64 v138, 0x3b76, v124
	v_add_f16_e64 v128, v72, v128
	v_fma_f16 v129, 0xbacd, v89, v137
	v_mul_f16_e64 v139, 0x3964, v107
	v_add_f16_e64 v140, v172, v143
	v_add_f16_e64 v106, v147, v141
	v_add_f16_e32 v126, v127, v126
	v_fma_f16 v127, 0x35c8, v101, v138
	v_add_f16_e64 v128, v129, v128
	v_fma_f16 v129, 0x39e9, v92, v139
	v_mul_f16_e64 v141, 0xbb29, v109
	v_add_f16_e64 v122, v140, v122
	v_mul_f16_e64 v140, 0x2de8, v110
	v_add_f16_e32 v126, v127, v126
	v_add_f16_e64 v127, v129, v128
	v_fma_f16 v128, 0x3722, v94, v141
	v_mul_f16_e64 v142, 0xb1e1, v112
	v_fma_f16 v129, 0x3bf7, v90, v140
	v_mul_f16_e64 v144, 0xbbdd, v114
	v_mul_f16_e64 v143, 0xb8d2, v125
	v_add_f16_e64 v127, v128, v127
	v_fma_f16 v128, 0xbbdd, v96, v142
	v_mul_f16_e64 v145, 0x3bf7, v115
	v_add_f16_e64 v129, v73, v129
	v_fma_f16 v146, 0x31e1, v91, v144
	;; [unrolled: 3-line block ×4, first 2 shown]
	v_mul_f16_e64 v149, 0x3b76, v119
	v_fma_f16 v150, 0x3a62, v103, v143
	v_add_f16_e64 v127, v128, v127
	v_fma_f16 v128, 0x3b76, v100, v148
	v_add_f16_e64 v129, v146, v129
	v_fma_f16 v146, 0xb5c8, v95, v149
	v_mul_f16_e64 v151, 0x3722, v123
	v_add_f16_e64 v126, v150, v126
	v_mul_f16_e64 v150, 0xbbf7, v104
	v_mul_f16_e64 v152, 0xba62, v120
	v_add_f16_e64 v127, v128, v127
	v_add_f16_e64 v128, v146, v129
	v_fma_f16 v129, 0x3b29, v97, v151
	v_mul_f16_e64 v146, 0xbacd, v121
	v_fma_f16 v153, 0x2de8, v88, v150
	v_mul_f16_e64 v154, 0xb1e1, v105
	v_fma_f16 v158, 0xb8d2, v102, v152
	v_add_f16_e64 v128, v129, v128
	v_fma_f16 v129, 0x3836, v99, v146
	v_mul_f16_e64 v155, 0xb8d2, v124
	v_add_f16_e64 v153, v72, v153
	v_fma_f16 v156, 0xbbdd, v89, v154
	v_mul_f16_e64 v157, 0x3bb2, v107
	v_add_f16_e64 v127, v158, v127
	v_mul_f16_e64 v158, 0x3722, v110
	v_add_f16_e64 v128, v129, v128
	v_fma_f16 v129, 0xba62, v101, v155
	v_add_f16_e64 v153, v156, v153
	v_fma_f16 v156, 0xb461, v92, v157
	v_mul_f16_e64 v159, 0x35c8, v109
	v_fma_f16 v161, 0x3b29, v90, v158
	v_mul_f16_e64 v162, 0xb8d2, v114
	v_add_f16_e64 v128, v129, v128
	v_add_f16_e64 v129, v156, v153
	v_fma_f16 v153, 0x3b76, v94, v159
	v_mul_f16_e64 v156, 0xbb29, v112
	v_add_f16_e64 v161, v73, v161
	v_fma_f16 v164, 0x3a62, v91, v162
	v_mul_f16_e64 v165, 0xbbdd, v116
	v_mul_f16_e64 v160, 0x39e9, v125
	v_add_f16_e64 v129, v153, v129
	v_fma_f16 v153, 0x3722, v96, v156
	v_mul_f16_e64 v163, 0xb836, v115
	v_add_f16_e64 v161, v164, v161
	v_fma_f16 v164, 0xb1e1, v93, v165
	;; [unrolled: 3-line block ×3, first 2 shown]
	v_mul_f16_e64 v166, 0x3a62, v117
	v_fma_f16 v168, 0xb964, v103, v160
	v_add_f16_e64 v161, v164, v161
	v_fma_f16 v164, 0xbbb2, v95, v167
	v_mul_f16_e64 v169, 0x39e9, v123
	v_add_f16_e64 v129, v153, v129
	v_fma_f16 v153, 0xb8d2, v100, v166
	v_add_f16_e64 v128, v168, v128
	v_add_f16_e64 v161, v164, v161
	v_fma_f16 v164, 0xb964, v97, v169
	v_mul_f16_e64 v168, 0x3b76, v121
	v_add_f16_e64 v129, v153, v129
	v_mul_f16_e64 v153, 0xbb29, v104
	v_mul_f16_e64 v173, 0x2de8, v124
	v_add_f16_e64 v161, v164, v161
	v_fma_f16 v164, 0x35c8, v99, v168
	v_mul_f16_e64 v172, 0xba62, v105
	v_fma_f16 v171, 0x3722, v88, v153
	v_mul_f16_e64 v170, 0x3964, v120
	v_mul_f16_e64 v175, 0x31e1, v107
	v_add_f16_e64 v161, v164, v161
	v_fma_f16 v164, 0x3bf7, v101, v173
	v_add_f16_e64 v171, v72, v171
	v_fma_f16 v174, 0xb8d2, v89, v172
	v_add_f16_e32 v27, v27, v72
	v_fma_f16 v176, 0x39e9, v102, v170
	v_add_f16_e64 v161, v164, v161
	v_mul_f16_e64 v164, 0x39e9, v110
	v_mul_f16_e32 v110, 0x3b76, v110
	v_add_f16_e64 v171, v174, v171
	v_fma_f16 v174, 0xbbdd, v92, v175
	v_mul_f16_e64 v177, 0x3bb2, v109
	v_mul_f16_e64 v180, 0x2de8, v114
	v_fma_f16 v196, 0x35c8, v90, v110
	v_mul_f16_e32 v114, 0x39e9, v114
	v_add_f16_e32 v27, v28, v27
	v_add_f16_e64 v129, v176, v129
	v_add_f16_e64 v171, v174, v171
	v_fma_f16 v174, 0xb461, v94, v177
	v_mul_f16_e64 v176, 0x3964, v112
	v_mul_f16_e64 v183, 0xb8d2, v116
	v_add_f16_e64 v196, v73, v196
	v_fma_f16 v198, 0x3964, v91, v114
	v_mul_f16_e32 v116, 0x3722, v116
	v_add_f16_e32 v27, v31, v27
	v_mul_f16_e64 v178, 0xbacd, v125
	v_add_f16_e64 v171, v174, v171
	v_fma_f16 v174, 0x39e9, v96, v176
	v_mul_f16_e64 v181, 0xb5c8, v115
	v_mul_f16_e64 v185, 0xbbdd, v119
	v_add_f16_e64 v196, v198, v196
	v_fma_f16 v198, 0x3b29, v93, v116
	v_mul_f16_e32 v119, 0x2de8, v119
	v_add_f16_e32 v83, v83, v73
	v_add_f16_e32 v27, v32, v27
	v_add_f16_e64 v171, v174, v171
	v_fma_f16 v174, 0x3b76, v98, v181
	v_mul_f16_e64 v184, 0xbbf7, v117
	v_fma_f16 v186, 0x3836, v103, v178
	v_mul_f16_e64 v187, 0xbacd, v123
	v_add_f16_e64 v196, v198, v196
	v_fma_f16 v198, 0x3bf7, v95, v119
	v_mul_f16_e32 v123, 0xb461, v123
	v_add_f16_e32 v28, v82, v83
	v_add_f16_e32 v27, v33, v27
	v_add_f16_e64 v171, v174, v171
	v_fma_f16 v174, 0x2de8, v100, v184
	v_add_f16_e64 v161, v186, v161
	v_mul_f16_e64 v186, 0xb461, v121
	v_add_f16_e64 v196, v198, v196
	v_fma_f16 v198, 0x3bb2, v97, v123
	v_mul_f16_e32 v121, 0xb8d2, v121
	v_add_f16_e32 v28, v81, v28
	v_add_f16_e32 v27, v34, v27
	v_add_f16_e64 v171, v174, v171
	v_mul_f16_e64 v174, 0xb964, v104
	v_add_f16_e64 v196, v198, v196
	v_fmamk_f16 v82, v99, 0x3a62, v121
	v_mul_f16_e32 v104, 0xb5c8, v104
	v_add_f16_e32 v28, v80, v28
	v_add_f16_e32 v27, v29, v27
	v_mul_f16_e32 v32, 0xb964, v105
	v_add_f16_e64 v31, v82, v196
	v_fmamk_f16 v82, v88, 0x3b76, v104
	v_add_f16_e32 v28, v79, v28
	v_add_f16_e32 v27, v30, v27
	v_fmamk_f16 v33, v89, 0x39e9, v32
	v_mul_f16_e32 v79, 0xbb29, v107
	v_add_f16_e32 v82, v72, v82
	v_add_f16_e32 v28, v78, v28
	;; [unrolled: 1-line block ×3, first 2 shown]
	v_mul_f16_e32 v78, 0xbbf7, v109
	v_fmamk_f16 v34, v92, 0x3722, v79
	v_add_f16_e32 v33, v33, v82
	v_add_f16_e32 v28, v77, v28
	;; [unrolled: 1-line block ×3, first 2 shown]
	v_fmac_f16_e64 v133, 0xbbb2, v90
	v_fmac_f16_e64 v131, 0x3836, v91
	v_add_f16_e32 v33, v34, v33
	v_fmamk_f16 v34, v94, 0x2de8, v78
	v_add_f16_e32 v28, v76, v28
	v_mul_f16_e32 v76, 0xbbb2, v112
	v_add_f16_e32 v13, v13, v25
	v_fmac_f16_e64 v132, 0x3964, v93
	v_add_f16_e32 v33, v34, v33
	v_add_f16_e32 v27, v75, v28
	v_fmamk_f16 v28, v96, 0xb461, v76
	v_mul_f16_e32 v34, 0xba62, v115
	v_add_f16_e32 v13, v14, v13
	v_fmac_f16_e64 v130, 0xbb29, v95
	v_add_f16_e32 v26, v74, v27
	v_add_f16_e64 v27, v73, v133
	v_add_f16_e32 v28, v28, v33
	v_fmamk_f16 v33, v98, 0xb8d2, v34
	v_add_f16_e32 v11, v11, v13
	v_add_f16_e32 v25, v71, v26
	v_add_f16_e64 v26, v131, v27
	v_mul_f16_e32 v81, 0xbacd, v124
	v_add_f16_e32 v27, v33, v28
	v_mul_f16_e32 v28, 0xb836, v117
	v_add_f16_e32 v11, v12, v11
	v_add_f16_e32 v14, v46, v25
	v_add_f16_e64 v25, v132, v26
	v_mul_f16_e32 v33, 0xb1e1, v120
	v_fmamk_f16 v26, v100, 0xbacd, v28
	v_add_f16_e32 v9, v9, v11
	v_add_f16_e32 v13, v44, v14
	v_add_f16_e64 v14, v130, v25
	v_fmac_f16_e64 v140, 0xbbf7, v90
	v_add_f16_e32 v25, v26, v27
	v_fmamk_f16 v26, v102, 0xbbdd, v33
	v_add_f16_e32 v9, v10, v9
	v_fma_f16 v10, v88, 0xb461, -v134
	v_fmamk_f16 v80, v101, 0x3836, v81
	v_mul_f16_e32 v29, 0xbbdd, v125
	v_add_f16_e32 v11, v26, v25
	v_fma_f16 v25, v89, 0xbacd, -v137
	v_add_f16_e32 v10, v72, v10
	v_add_f16_e64 v26, v73, v140
	v_fmac_f16_e64 v144, 0xb1e1, v91
	v_add_f16_e32 v31, v80, v31
	v_fmamk_f16 v30, v103, 0x31e1, v29
	v_fmac_f16_e64 v135, 0xb1e1, v97
	v_fma_f16 v27, v88, 0x2de8, -v150
	v_add_f16_e32 v10, v25, v10
	v_fma_f16 v25, v92, 0x39e9, -v139
	v_add_f16_e64 v26, v144, v26
	v_fmac_f16_e64 v147, 0x3bb2, v93
	v_add_f16_e32 v12, v43, v13
	v_add_f16_e64 v13, v135, v14
	v_add_f16_e32 v14, v30, v31
	v_add_f16_e32 v27, v72, v27
	v_fma_f16 v30, v89, 0xbbdd, -v154
	v_add_f16_e32 v10, v25, v10
	v_fma_f16 v25, v94, 0x3722, -v141
	v_add_f16_e64 v26, v147, v26
	v_fmac_f16_e64 v149, 0x35c8, v95
	v_add_f16_e32 v27, v30, v27
	v_fma_f16 v30, v92, 0xb461, -v157
	v_add_f16_e32 v10, v25, v10
	v_fma_f16 v25, v96, 0xbbdd, -v142
	v_add_f16_e64 v26, v149, v26
	v_fmac_f16_e64 v151, 0xbb29, v97
	;; [unrolled: 6-line block ×5, first 2 shown]
	v_add_f16_e32 v27, v30, v27
	v_fma_f16 v30, v100, 0xb8d2, -v166
	v_add_f16_e32 v10, v25, v10
	v_fmac_f16_e64 v158, 0xbb29, v90
	v_add_f16_e64 v25, v160, v26
	v_fma_f16 v26, v88, 0x3722, -v153
	v_fma_f16 v179, 0x3964, v90, v164
	v_add_f16_e32 v12, v42, v12
	v_add_f16_e32 v27, v30, v27
	v_fma_f16 v30, v102, 0x39e9, -v170
	v_add_f16_e64 v31, v73, v158
	v_fmac_f16_e64 v162, 0xba62, v91
	v_add_f16_e32 v26, v72, v26
	v_fma_f16 v42, v89, 0xb8d2, -v172
	v_fmac_f16_e64 v164, 0xb964, v90
	v_add_f16_e64 v179, v73, v179
	v_fma_f16 v182, 0x3bf7, v91, v180
	v_add_f16_e32 v27, v30, v27
	v_add_f16_e64 v30, v162, v31
	v_add_f16_e32 v26, v42, v26
	v_fma_f16 v31, v92, 0xbbdd, -v175
	v_add_f16_e64 v42, v73, v164
	v_fmac_f16_e64 v180, 0xbbf7, v91
	v_add_f16_e64 v179, v182, v179
	v_fma_f16 v182, 0x3a62, v93, v183
	v_add_f16_e32 v26, v31, v26
	v_fma_f16 v31, v94, 0xb461, -v177
	v_add_f16_e64 v42, v180, v42
	v_fmac_f16_e64 v183, 0xba62, v93
	v_add_f16_e64 v179, v182, v179
	v_fma_f16 v182, 0x31e1, v95, v185
	v_add_f16_e32 v26, v31, v26
	v_fma_f16 v31, v96, 0x39e9, -v176
	v_add_f16_e64 v42, v183, v42
	v_fmac_f16_e64 v185, 0xb1e1, v95
	v_add_f16_e64 v179, v182, v179
	v_fma_f16 v182, 0xb836, v97, v187
	v_fma_f16 v189, 0x39e9, v88, v174
	v_mul_f16_e64 v190, 0xbbf7, v105
	v_add_f16_e32 v26, v31, v26
	v_fma_f16 v31, v98, 0x3b76, -v181
	v_add_f16_e64 v42, v185, v42
	v_fmac_f16_e64 v187, 0x3836, v97
	v_add_f16_e64 v179, v182, v179
	v_fma_f16 v182, 0xbbb2, v99, v186
	v_mul_f16_e64 v191, 0x3722, v124
	v_add_f16_e64 v189, v72, v189
	v_fma_f16 v192, 0x2de8, v89, v190
	v_mul_f16_e64 v193, 0xba62, v107
	v_mul_f16_e64 v188, 0xb836, v120
	v_add_f16_e32 v26, v31, v26
	v_fma_f16 v31, v100, 0x2de8, -v184
	v_add_f16_e64 v42, v187, v42
	v_fmac_f16_e64 v186, 0x3bb2, v99
	v_add_f16_e64 v179, v182, v179
	v_fma_f16 v182, 0xbb29, v101, v191
	v_add_f16_e64 v189, v192, v189
	v_fma_f16 v192, 0xb8d2, v92, v193
	v_mul_f16_e64 v195, 0xb1e1, v109
	v_add_f16_e32 v26, v31, v26
	v_fma_f16 v31, v102, 0xbacd, -v188
	v_add_f16_e64 v42, v186, v42
	v_fmac_f16_e64 v191, 0x3b29, v101
	v_fma_f16 v43, v88, 0x39e9, -v174
	v_fmac_f16_e32 v110, 0xb5c8, v90
	v_add_f16_e32 v12, v45, v12
	v_fma_f16 v45, v88, 0x3b76, -v104
	v_add_f16_e64 v179, v182, v179
	v_add_f16_e64 v182, v192, v189
	v_fma_f16 v189, 0xbbdd, v94, v195
	v_mul_f16_e64 v192, 0x3836, v112
	v_add_f16_e32 v26, v31, v26
	v_add_f16_e64 v31, v191, v42
	v_add_f16_e32 v42, v72, v43
	v_fma_f16 v43, v89, 0x2de8, -v190
	v_add_f16_e32 v44, v73, v110
	v_fmac_f16_e32 v114, 0xb964, v91
	v_add_f16_e32 v45, v72, v45
	v_fma_f16 v32, v89, 0x39e9, -v32
	v_add_f16_e64 v182, v189, v182
	v_fma_f16 v189, 0xbacd, v96, v192
	v_mul_f16_e64 v197, 0x3bb2, v115
	v_add_f16_e32 v42, v43, v42
	v_fma_f16 v43, v92, 0xb8d2, -v193
	v_fmac_f16_e64 v165, 0x31e1, v93
	v_add_f16_e32 v44, v114, v44
	v_fmac_f16_e32 v116, 0xbb29, v93
	v_add_f16_e32 v32, v32, v45
	v_fma_f16 v45, v92, 0x3722, -v79
	v_fma_f16 v194, 0xbacd, v102, v188
	v_add_f16_e64 v182, v189, v182
	v_fma_f16 v189, 0xb461, v98, v197
	v_mul_f16_e64 v199, 0x3b29, v117
	v_add_f16_e32 v42, v43, v42
	v_fma_f16 v43, v94, 0xbbdd, -v195
	v_add_f16_e64 v30, v165, v30
	v_fmac_f16_e64 v167, 0x3bb2, v95
	v_add_f16_e32 v44, v116, v44
	v_fmac_f16_e32 v119, 0xbbf7, v95
	v_add_f16_e32 v32, v45, v32
	v_fma_f16 v45, v94, 0x2de8, -v78
	v_add_f16_e64 v171, v194, v171
	v_mul_f16_e64 v194, 0x3b76, v125
	v_add_f16_e64 v182, v189, v182
	v_fma_f16 v189, 0x3722, v100, v199
	v_add_f16_e32 v42, v43, v42
	v_fma_f16 v43, v96, 0xbacd, -v192
	v_add_f16_e64 v30, v167, v30
	v_fmac_f16_e64 v169, 0x3964, v97
	v_add_f16_e32 v44, v119, v44
	v_fmac_f16_e32 v123, 0xbbb2, v97
	v_add_f16_e32 v32, v45, v32
	v_fma_f16 v45, v96, 0xb461, -v76
	v_fma_f16 v200, 0xb5c8, v103, v194
	v_add_f16_e64 v182, v189, v182
	v_mul_f16_e64 v189, 0x35c8, v120
	v_fmac_f16_e64 v136, 0x3bf7, v99
	v_add_f16_e32 v42, v43, v42
	v_fma_f16 v43, v98, 0xb461, -v197
	v_add_f16_e64 v30, v169, v30
	v_fmac_f16_e64 v168, 0xb5c8, v99
	v_add_f16_e32 v44, v123, v44
	v_fmac_f16_e32 v121, 0xba62, v99
	v_add_f16_e32 v32, v45, v32
	v_fma_f16 v34, v98, 0xb8d2, -v34
	v_add_f16_e64 v179, v200, v179
	v_fma_f16 v200, 0x3b76, v102, v189
	v_add_f16_e64 v13, v136, v13
	v_fmac_f16_e64 v138, 0xb5c8, v101
	v_add_f16_e32 v42, v43, v42
	v_fma_f16 v43, v100, 0x3722, -v199
	v_add_f16_e64 v30, v168, v30
	v_fmac_f16_e64 v173, 0xbbf7, v101
	v_add_f16_e32 v44, v121, v44
	v_fmac_f16_e32 v81, 0xb836, v101
	v_add_f16_e32 v32, v34, v32
	v_fma_f16 v28, v100, 0xbacd, -v28
	v_and_b32_e32 v34, 0xffff, v41
	v_add_f16_e64 v83, v200, v182
	v_add_f16_e64 v13, v138, v13
	v_fmac_f16_e64 v143, 0xba62, v103
	v_add_f16_e32 v42, v43, v42
	v_fma_f16 v43, v102, 0x3b76, -v189
	v_add_f16_e64 v30, v173, v30
	v_fmac_f16_e64 v178, 0xb836, v103
	v_fmac_f16_e64 v194, 0x35c8, v103
	v_add_f16_e32 v44, v81, v44
	v_fmac_f16_e32 v29, 0xb1e1, v103
	v_add_f16_e32 v28, v28, v32
	v_fma_f16 v32, v102, 0xbbdd, -v33
	v_lshl_add_u32 v33, v34, 2, v39
	v_pack_b32_f16 v11, v11, v14
	v_pack_b32_f16 v9, v9, v12
	;; [unrolled: 1-line block ×4, first 2 shown]
	v_add_f16_e64 v13, v143, v13
	v_add_f16_e32 v41, v43, v42
	v_pack_b32_f16 v34, v127, v126
	v_pack_b32_f16 v42, v129, v128
	v_add_f16_e64 v30, v178, v30
	v_add_f16_e64 v31, v194, v31
	v_add_f16_e32 v29, v29, v44
	v_pack_b32_f16 v43, v113, v111
	v_pack_b32_f16 v44, v122, v118
	v_add_f16_e32 v28, v32, v28
	ds_store_2addr_b32 v33, v9, v11 offset1:1
	ds_store_2addr_b32 v33, v14, v12 offset0:2 offset1:3
	ds_store_2addr_b32 v33, v42, v34 offset0:4 offset1:5
	;; [unrolled: 1-line block ×3, first 2 shown]
	v_pack_b32_f16 v9, v108, v106
	v_perm_b32 v11, v85, v84, 0x5040100
	v_perm_b32 v12, v87, v36, 0x5040100
	;; [unrolled: 1-line block ×3, first 2 shown]
	v_pack_b32_f16 v25, v27, v25
	v_pack_b32_f16 v10, v10, v13
	;; [unrolled: 1-line block ×5, first 2 shown]
	ds_store_2addr_b32 v33, v9, v11 offset0:8 offset1:9
	ds_store_2addr_b32 v33, v14, v12 offset0:10 offset1:11
	;; [unrolled: 1-line block ×4, first 2 shown]
	ds_store_b32 v33, v27 offset:64
.LBB0_17:
	s_wait_alu 0xfffe
	s_or_b32 exec_lo, exec_lo, s1
	v_add_nc_u32_e32 v13, 0x400, v47
	v_add_nc_u32_e32 v14, 0x200, v47
	global_wb scope:SCOPE_SE
	s_wait_dscnt 0x0
	s_barrier_signal -1
	s_barrier_wait -1
	global_inv scope:SCOPE_SE
	ds_load_2addr_b32 v[11:12], v47 offset1:51
	ds_load_2addr_b32 v[9:10], v47 offset0:102 offset1:187
	ds_load_2addr_b32 v[25:26], v13 offset0:118 offset1:169
	ds_load_2addr_b32 v[13:14], v14 offset0:110 offset1:161
	ds_load_b32 v27, v47 offset:1904
	s_and_saveexec_b32 s1, s0
	s_cbranch_execz .LBB0_19
; %bb.18:
	v_add_nc_u32_e32 v28, 0x500, v47
	ds_load_b32 v84, v47 offset:612
	ds_load_2addr_b32 v[35:36], v28 offset0:20 offset1:207
	s_wait_dscnt 0x1
	v_lshrrev_b32_e32 v85, 16, v84
	s_wait_dscnt 0x0
	v_lshrrev_b32_e32 v86, 16, v35
	v_lshrrev_b32_e32 v87, 16, v36
.LBB0_19:
	s_wait_alu 0xfffe
	s_or_b32 exec_lo, exec_lo, s1
	s_wait_dscnt 0x3
	v_lshrrev_b32_e32 v29, 16, v10
	s_wait_dscnt 0x2
	v_lshrrev_b32_e32 v30, 16, v25
	;; [unrolled: 2-line block ×3, first 2 shown]
	v_mul_f16_e32 v43, v60, v10
	v_lshrrev_b32_e32 v33, 16, v26
	v_mul_f16_e32 v41, v60, v29
	v_mul_f16_e32 v45, v59, v30
	v_lshrrev_b32_e32 v42, 16, v14
	s_wait_dscnt 0x0
	v_lshrrev_b32_e32 v44, 16, v27
	v_lshrrev_b32_e32 v28, 16, v11
	v_fmac_f16_e32 v41, v21, v10
	v_mul_f16_e32 v10, v59, v25
	v_fma_f16 v21, v21, v29, -v43
	v_mul_f16_e32 v29, v58, v32
	v_fmac_f16_e32 v45, v22, v25
	v_mul_f16_e32 v25, v58, v13
	v_fma_f16 v10, v22, v30, -v10
	v_mul_f16_e32 v22, v57, v33
	;; [unrolled: 4-line block ×4, first 2 shown]
	v_fmac_f16_e32 v25, v17, v14
	v_mul_f16_e32 v14, v55, v27
	v_fma_f16 v17, v17, v42, -v26
	v_add_f16_e32 v26, v41, v45
	v_fmac_f16_e32 v20, v18, v27
	v_add_f16_e32 v27, v11, v41
	v_fma_f16 v14, v18, v44, -v14
	v_add_f16_e32 v18, v21, v10
	v_fma_f16 v11, -0.5, v26, v11
	v_sub_f16_e32 v26, v21, v10
	v_add_f16_e32 v21, v28, v21
	v_lshrrev_b32_e32 v31, 16, v12
	v_fmac_f16_e32 v28, -0.5, v18
	v_sub_f16_e32 v18, v41, v45
	v_fmamk_f16 v30, v26, 0xbaee, v11
	v_fmac_f16_e32 v11, 0x3aee, v26
	v_add_f16_e32 v10, v21, v10
	v_add_f16_e32 v21, v29, v22
	v_fmamk_f16 v26, v18, 0x3aee, v28
	v_fmac_f16_e32 v28, 0xbaee, v18
	v_add_f16_e32 v18, v19, v13
	v_add_f16_e32 v32, v12, v29
	v_fmac_f16_e32 v12, -0.5, v21
	v_sub_f16_e32 v21, v19, v13
	v_add_f16_e32 v19, v31, v19
	v_fmac_f16_e32 v31, -0.5, v18
	v_sub_f16_e32 v18, v29, v22
	v_lshrrev_b32_e32 v34, 16, v9
	v_add_f16_e32 v32, v32, v22
	v_fmamk_f16 v22, v21, 0xbaee, v12
	v_fmac_f16_e32 v12, 0x3aee, v21
	v_add_f16_e32 v13, v19, v13
	v_add_f16_e32 v19, v25, v20
	v_fmamk_f16 v21, v18, 0x3aee, v31
	v_fmac_f16_e32 v31, 0xbaee, v18
	v_add_f16_e32 v18, v17, v14
	v_add_f16_e32 v27, v27, v45
	;; [unrolled: 1-line block ×3, first 2 shown]
	v_fmac_f16_e32 v9, -0.5, v19
	v_sub_f16_e32 v19, v17, v14
	v_add_f16_e32 v17, v34, v17
	v_fmac_f16_e32 v34, -0.5, v18
	v_sub_f16_e32 v18, v25, v20
	v_pack_b32_f16 v10, v27, v10
	v_add_f16_e32 v20, v29, v20
	v_add_f16_e32 v14, v17, v14
	v_fmamk_f16 v25, v19, 0xbaee, v9
	v_fmamk_f16 v17, v18, 0x3aee, v34
	v_fmac_f16_e32 v34, 0xbaee, v18
	v_pack_b32_f16 v18, v30, v26
	v_fmac_f16_e32 v9, 0x3aee, v19
	global_wb scope:SCOPE_SE
	s_barrier_signal -1
	s_barrier_wait -1
	global_inv scope:SCOPE_SE
	ds_store_2addr_b32 v52, v10, v18 offset1:17
	v_pack_b32_f16 v10, v11, v28
	v_pack_b32_f16 v11, v32, v13
	;; [unrolled: 1-line block ×7, first 2 shown]
	ds_store_b32 v52, v10 offset:136
	ds_store_2addr_b32 v54, v11, v13 offset1:17
	ds_store_b32 v54, v12 offset:136
	ds_store_2addr_b32 v53, v14, v17 offset1:17
	ds_store_b32 v53, v9 offset:136
	s_and_saveexec_b32 s1, s0
	s_cbranch_execz .LBB0_21
; %bb.20:
	v_mul_f16_e32 v9, v51, v35
	v_mul_f16_e32 v10, v50, v36
	;; [unrolled: 1-line block ×4, first 2 shown]
	v_mul_u32_u24_e32 v14, 51, v49
	v_fma_f16 v9, v15, v86, -v9
	v_fma_f16 v10, v16, v87, -v10
	v_fmac_f16_e32 v11, v15, v35
	v_fmac_f16_e32 v12, v16, v36
	v_add_nc_u32_e32 v14, v14, v48
	v_add_f16_e32 v17, v85, v9
	v_add_f16_e32 v13, v9, v10
	v_sub_f16_e32 v9, v9, v10
	v_add_f16_e32 v15, v11, v12
	v_sub_f16_e32 v16, v11, v12
	v_add_f16_e32 v11, v84, v11
	v_fma_f16 v13, -0.5, v13, v85
	v_add_f16_e32 v10, v17, v10
	v_fma_f16 v15, -0.5, v15, v84
	s_delay_alu instid0(VALU_DEP_4) | instskip(NEXT) | instid1(VALU_DEP_4)
	v_add_f16_e32 v11, v11, v12
	v_fmamk_f16 v17, v16, 0xbaee, v13
	v_fmac_f16_e32 v13, 0x3aee, v16
	s_delay_alu instid0(VALU_DEP_4) | instskip(SKIP_3) | instid1(VALU_DEP_4)
	v_fmamk_f16 v16, v9, 0x3aee, v15
	v_fmac_f16_e32 v15, 0xbaee, v9
	v_lshl_add_u32 v9, v14, 2, v39
	v_pack_b32_f16 v10, v11, v10
	v_pack_b32_f16 v12, v16, v17
	s_delay_alu instid0(VALU_DEP_4)
	v_pack_b32_f16 v11, v15, v13
	ds_store_2addr_b32 v9, v10, v11 offset1:17
	ds_store_b32 v9, v12 offset:136
.LBB0_21:
	s_wait_alu 0xfffe
	s_or_b32 exec_lo, exec_lo, s1
	global_wb scope:SCOPE_SE
	s_wait_dscnt 0x0
	s_barrier_signal -1
	s_barrier_wait -1
	global_inv scope:SCOPE_SE
	ds_load_2addr_b32 v[9:10], v47 offset1:51
	ds_load_b32 v19, v47 offset:408
	ds_load_2addr_b32 v[11:12], v47 offset0:153 offset1:204
	v_add_nc_u32_e32 v13, 0x200, v47
	v_add_nc_u32_e32 v17, 0x400, v47
	ds_load_2addr_b32 v[13:14], v13 offset0:127 offset1:178
	ds_load_2addr_b32 v[15:16], v17 offset0:101 offset1:152
	;; [unrolled: 1-line block ×3, first 2 shown]
	s_wait_dscnt 0x5
	v_lshrrev_b32_e32 v21, 16, v10
	s_wait_dscnt 0x4
	v_lshrrev_b32_e32 v22, 16, v19
	;; [unrolled: 2-line block ×3, first 2 shown]
	v_mul_f16_e32 v27, v69, v10
	v_lshrrev_b32_e32 v26, 16, v12
	v_mul_f16_e32 v34, v69, v21
	s_wait_dscnt 0x2
	v_lshrrev_b32_e32 v29, 16, v13
	v_mul_f16_e32 v35, v70, v22
	v_fma_f16 v21, v4, v21, -v27
	v_mul_f16_e32 v27, v68, v25
	v_fmac_f16_e32 v34, v4, v10
	v_mul_f16_e32 v4, v68, v11
	v_lshrrev_b32_e32 v20, 16, v9
	v_mul_f16_e32 v28, v70, v19
	v_fmac_f16_e32 v35, v5, v19
	v_mul_f16_e32 v10, v67, v26
	v_fmac_f16_e32 v27, v6, v11
	v_fma_f16 v4, v6, v25, -v4
	v_mul_f16_e32 v6, v66, v29
	v_add_f16_e32 v11, v9, v34
	v_lshrrev_b32_e32 v30, 16, v14
	v_fma_f16 v5, v5, v22, -v28
	v_mul_f16_e32 v19, v67, v12
	v_fmac_f16_e32 v10, v7, v12
	v_mul_f16_e32 v12, v66, v13
	v_fmac_f16_e32 v6, v0, v13
	v_add_f16_e32 v13, v20, v21
	v_add_f16_e32 v11, v11, v35
	s_wait_dscnt 0x1
	v_lshrrev_b32_e32 v31, 16, v15
	v_fma_f16 v7, v7, v26, -v19
	v_mul_f16_e32 v19, v65, v30
	v_fma_f16 v0, v0, v29, -v12
	v_mul_f16_e32 v12, v65, v14
	v_add_f16_e32 v13, v13, v5
	v_add_f16_e32 v11, v11, v27
	v_lshrrev_b32_e32 v32, 16, v16
	v_fmac_f16_e32 v19, v1, v14
	v_mul_f16_e32 v14, v64, v31
	v_fma_f16 v1, v1, v30, -v12
	v_add_f16_e32 v12, v13, v4
	v_add_f16_e32 v11, v11, v10
	s_wait_dscnt 0x0
	v_lshrrev_b32_e32 v33, 16, v17
	v_mul_f16_e32 v22, v64, v15
	v_fmac_f16_e32 v14, v2, v15
	v_mul_f16_e32 v13, v63, v32
	v_add_f16_e32 v12, v12, v7
	v_add_f16_e32 v11, v11, v6
	v_mul_f16_e32 v15, v63, v16
	v_lshrrev_b32_e32 v36, 16, v18
	v_fma_f16 v2, v2, v31, -v22
	v_mul_f16_e32 v22, v61, v33
	v_fmac_f16_e32 v13, v3, v16
	v_add_f16_e32 v12, v12, v0
	v_add_f16_e32 v11, v11, v19
	v_fma_f16 v3, v3, v32, -v15
	v_mul_f16_e32 v15, v62, v18
	v_fmac_f16_e32 v22, v23, v17
	v_add_f16_e32 v12, v12, v1
	v_add_f16_e32 v11, v11, v14
	v_mul_f16_e32 v16, v61, v17
	v_mul_f16_e32 v17, v62, v36
	v_fma_f16 v15, v24, v36, -v15
	v_add_f16_e32 v12, v12, v2
	v_add_f16_e32 v11, v11, v13
	v_fma_f16 v16, v23, v33, -v16
	v_fmac_f16_e32 v17, v24, v18
	v_sub_f16_e32 v18, v21, v15
	v_add_f16_e32 v12, v12, v3
	v_add_f16_e32 v11, v11, v22
	;; [unrolled: 1-line block ×4, first 2 shown]
	v_mul_f16_e32 v24, 0xb853, v18
	v_sub_f16_e32 v45, v5, v16
	v_add_f16_e32 v12, v12, v16
	v_sub_f16_e32 v25, v34, v17
	v_mul_f16_e32 v26, 0x3abb, v21
	v_fmamk_f16 v28, v23, 0x3abb, v24
	v_add_f16_e32 v11, v11, v17
	v_mul_f16_e32 v17, 0xbb47, v18
	v_mul_f16_e32 v30, 0x36a6, v21
	v_mul_f16_e32 v31, 0xbbeb, v18
	v_mul_f16_e32 v34, 0xb08e, v21
	v_mul_f16_e32 v39, 0xba0c, v18
	v_mul_f16_e32 v41, 0xb93d, v21
	v_mul_f16_e32 v18, 0xb482, v18
	v_mul_f16_e32 v21, 0xbbad, v21
	v_add_f16_e32 v47, v35, v22
	v_mul_f16_e32 v48, 0xbb47, v45
	v_add_f16_e32 v5, v5, v16
	v_add_f16_e32 v12, v12, v15
	v_fmamk_f16 v15, v25, 0x3853, v26
	v_add_f16_e32 v28, v9, v28
	v_fma_f16 v24, v23, 0x3abb, -v24
	v_fmac_f16_e32 v26, 0xb853, v25
	v_fmamk_f16 v29, v23, 0x36a6, v17
	v_fmamk_f16 v32, v25, 0x3b47, v30
	v_fma_f16 v17, v23, 0x36a6, -v17
	v_fmac_f16_e32 v30, 0xbb47, v25
	v_fmamk_f16 v33, v23, 0xb08e, v31
	v_fmamk_f16 v36, v25, 0x3beb, v34
	;; [unrolled: 4-line block ×4, first 2 shown]
	v_fma_f16 v16, v23, 0xbbad, -v18
	v_fmac_f16_e32 v21, 0xb482, v25
	v_sub_f16_e32 v18, v35, v22
	v_fmamk_f16 v22, v47, 0x36a6, v48
	v_mul_f16_e32 v23, 0x36a6, v5
	v_add_f16_e32 v15, v20, v15
	v_add_f16_e32 v24, v9, v24
	;; [unrolled: 1-line block ×20, first 2 shown]
	v_fmamk_f16 v21, v18, 0x3b47, v23
	v_mul_f16_e32 v22, 0xba0c, v45
	v_fma_f16 v28, v47, 0x36a6, -v48
	v_fmac_f16_e32 v23, 0xbb47, v18
	v_mul_f16_e32 v35, 0xb93d, v5
	v_add_f16_e32 v15, v21, v15
	v_fmamk_f16 v21, v47, 0xb93d, v22
	v_add_f16_e32 v24, v28, v24
	v_add_f16_e32 v23, v23, v26
	v_fmamk_f16 v26, v18, 0x3a0c, v35
	v_mul_f16_e32 v28, 0x3482, v45
	v_add_f16_e32 v21, v21, v29
	v_fma_f16 v22, v47, 0xb93d, -v22
	v_fmac_f16_e32 v35, 0xba0c, v18
	v_add_f16_e32 v26, v26, v32
	v_fmamk_f16 v29, v47, 0xbbad, v28
	v_mul_f16_e32 v32, 0xbbad, v5
	v_add_f16_e32 v17, v22, v17
	v_add_f16_e32 v22, v35, v30
	v_mul_f16_e32 v30, 0x3beb, v45
	v_add_f16_e32 v29, v29, v33
	v_fmamk_f16 v33, v18, 0xb482, v32
	v_fma_f16 v28, v47, 0xbbad, -v28
	v_fmac_f16_e32 v32, 0x3482, v18
	v_mul_f16_e32 v46, 0xb08e, v5
	v_fmamk_f16 v35, v47, 0xb08e, v30
	v_mul_f16_e32 v5, 0x3abb, v5
	v_add_f16_e32 v28, v28, v31
	v_add_f16_e32 v31, v32, v34
	v_fmamk_f16 v34, v18, 0xbbeb, v46
	v_fma_f16 v30, v47, 0xb08e, -v30
	v_fmac_f16_e32 v46, 0x3beb, v18
	v_add_f16_e32 v32, v35, v42
	v_mul_f16_e32 v35, 0x3853, v45
	v_fmamk_f16 v42, v18, 0xb853, v5
	v_add_f16_e32 v30, v30, v39
	v_add_f16_e32 v39, v46, v41
	v_sub_f16_e32 v41, v4, v3
	v_add_f16_e32 v3, v4, v3
	v_add_f16_e32 v33, v33, v36
	v_fmamk_f16 v36, v47, 0x3abb, v35
	v_add_f16_e32 v25, v42, v25
	v_add_f16_e32 v42, v27, v13
	v_mul_f16_e32 v4, 0xbbeb, v41
	v_fma_f16 v35, v47, 0x3abb, -v35
	v_fmac_f16_e32 v5, 0x3853, v18
	v_sub_f16_e32 v13, v27, v13
	v_mul_f16_e32 v18, 0xb08e, v3
	v_fmamk_f16 v27, v42, 0xb08e, v4
	v_add_f16_e32 v9, v35, v9
	v_add_f16_e32 v5, v5, v16
	v_mul_f16_e32 v16, 0x3482, v41
	v_fmamk_f16 v35, v13, 0x3beb, v18
	v_add_f16_e32 v20, v27, v20
	v_fma_f16 v4, v42, 0xb08e, -v4
	v_fmac_f16_e32 v18, 0xbbeb, v13
	v_fmamk_f16 v27, v42, 0xbbad, v16
	v_add_f16_e32 v15, v35, v15
	v_mul_f16_e32 v35, 0xbbad, v3
	v_add_f16_e32 v4, v4, v24
	v_add_f16_e32 v18, v18, v23
	;; [unrolled: 1-line block ×3, first 2 shown]
	v_mul_f16_e32 v23, 0x3b47, v41
	v_fmamk_f16 v24, v13, 0xb482, v35
	v_fma_f16 v16, v42, 0xbbad, -v16
	v_fmac_f16_e32 v35, 0x3482, v13
	v_mul_f16_e32 v27, 0x36a6, v3
	v_add_f16_e32 v34, v34, v43
	v_fmamk_f16 v43, v42, 0x36a6, v23
	v_add_f16_e32 v16, v16, v17
	v_add_f16_e32 v17, v35, v22
	v_fmamk_f16 v22, v13, 0xbb47, v27
	v_add_f16_e32 v24, v24, v26
	v_add_f16_e32 v26, v43, v29
	v_mul_f16_e32 v29, 0xb853, v41
	v_fma_f16 v23, v42, 0x36a6, -v23
	v_fmac_f16_e32 v27, 0x3b47, v13
	v_add_f16_e32 v22, v22, v33
	v_mul_f16_e32 v33, 0x3abb, v3
	v_fmamk_f16 v35, v42, 0x3abb, v29
	v_add_f16_e32 v23, v23, v28
	v_add_f16_e32 v27, v27, v31
	v_mul_f16_e32 v28, 0xba0c, v41
	v_fmamk_f16 v31, v13, 0x3853, v33
	v_add_f16_e32 v36, v36, v44
	v_add_f16_e32 v32, v35, v32
	v_fma_f16 v29, v42, 0x3abb, -v29
	v_fmac_f16_e32 v33, 0xb853, v13
	v_fmamk_f16 v35, v42, 0xb93d, v28
	v_add_f16_e32 v31, v31, v34
	v_mul_f16_e32 v3, 0xb93d, v3
	v_sub_f16_e32 v34, v7, v2
	v_add_f16_e32 v2, v7, v2
	v_add_f16_e32 v29, v29, v30
	v_add_f16_e32 v30, v33, v39
	v_add_f16_e32 v33, v35, v36
	v_fmamk_f16 v35, v13, 0x3a0c, v3
	v_fma_f16 v28, v42, 0xb93d, -v28
	v_add_f16_e32 v7, v10, v14
	v_mul_f16_e32 v36, 0xba0c, v34
	v_fmac_f16_e32 v3, 0xba0c, v13
	v_sub_f16_e32 v10, v10, v14
	v_mul_f16_e32 v13, 0xb93d, v2
	v_add_f16_e32 v14, v35, v25
	v_fmamk_f16 v25, v7, 0xb93d, v36
	v_add_f16_e32 v9, v28, v9
	v_add_f16_e32 v3, v3, v5
	v_fmamk_f16 v5, v10, 0x3a0c, v13
	v_mul_f16_e32 v28, 0x3beb, v34
	v_fmac_f16_e32 v13, 0xba0c, v10
	v_add_f16_e32 v20, v25, v20
	v_fma_f16 v25, v7, 0xb93d, -v36
	v_add_f16_e32 v5, v5, v15
	v_fmamk_f16 v15, v7, 0xb08e, v28
	v_mul_f16_e32 v35, 0xb08e, v2
	v_add_f16_e32 v13, v13, v18
	v_mul_f16_e32 v18, 0xb853, v34
	v_add_f16_e32 v4, v25, v4
	v_add_f16_e32 v15, v15, v21
	v_fmamk_f16 v21, v10, 0xbbeb, v35
	v_fma_f16 v25, v7, 0xb08e, -v28
	v_fmamk_f16 v28, v7, 0x3abb, v18
	v_mul_f16_e32 v36, 0x3abb, v2
	v_fma_f16 v18, v7, 0x3abb, -v18
	v_add_f16_e32 v21, v21, v24
	v_add_f16_e32 v16, v25, v16
	;; [unrolled: 1-line block ×3, first 2 shown]
	v_fmamk_f16 v25, v10, 0x3853, v36
	v_mul_f16_e32 v26, 0xb482, v34
	v_mul_f16_e32 v28, 0xbbad, v2
	v_add_f16_e32 v18, v18, v23
	v_mul_f16_e32 v34, 0x3b47, v34
	v_add_f16_e32 v22, v25, v22
	v_fmamk_f16 v25, v7, 0xbbad, v26
	v_fmamk_f16 v23, v10, 0x3482, v28
	v_fma_f16 v26, v7, 0xbbad, -v26
	v_fmac_f16_e32 v28, 0xb482, v10
	v_mul_f16_e32 v2, 0x36a6, v2
	v_add_f16_e32 v25, v25, v32
	v_add_f16_e32 v23, v23, v31
	v_fmamk_f16 v31, v7, 0x36a6, v34
	v_add_f16_e32 v26, v26, v29
	v_sub_f16_e32 v29, v0, v1
	v_add_f16_e32 v28, v28, v30
	v_add_f16_e32 v32, v6, v19
	;; [unrolled: 1-line block ×4, first 2 shown]
	v_mul_f16_e32 v33, 0xb482, v29
	v_fmac_f16_e32 v35, 0x3beb, v10
	v_fmac_f16_e32 v36, 0xb853, v10
	v_fmamk_f16 v31, v10, 0xbb47, v2
	v_fma_f16 v1, v7, 0x36a6, -v34
	v_fmac_f16_e32 v2, 0x3b47, v10
	v_sub_f16_e32 v6, v6, v19
	v_fmamk_f16 v7, v32, 0xbbad, v33
	v_mul_f16_e32 v10, 0xbbad, v0
	v_add_f16_e32 v1, v1, v9
	v_add_f16_e32 v2, v2, v3
	v_mul_f16_e32 v9, 0x3853, v29
	v_add_f16_e32 v3, v7, v20
	v_fmamk_f16 v7, v6, 0x3482, v10
	v_fma_f16 v19, v32, 0xbbad, -v33
	v_fmac_f16_e32 v10, 0xb482, v6
	v_mul_f16_e32 v20, 0x3abb, v0
	v_add_f16_e32 v17, v35, v17
	v_add_f16_e32 v5, v7, v5
	v_fmamk_f16 v7, v32, 0x3abb, v9
	v_add_f16_e32 v4, v19, v4
	v_add_f16_e32 v10, v10, v13
	v_fmamk_f16 v13, v6, 0xb853, v20
	v_mul_f16_e32 v19, 0xba0c, v29
	v_fma_f16 v9, v32, 0x3abb, -v9
	v_fmac_f16_e32 v20, 0x3853, v6
	v_add_f16_e32 v7, v7, v15
	v_add_f16_e32 v13, v13, v21
	v_fmamk_f16 v15, v32, 0xb93d, v19
	v_mul_f16_e32 v21, 0xb93d, v0
	v_add_f16_e32 v9, v9, v16
	v_add_f16_e32 v16, v20, v17
	v_mul_f16_e32 v17, 0x3b47, v29
	v_add_f16_e32 v27, v36, v27
	v_add_f16_e32 v15, v15, v24
	v_fmamk_f16 v20, v6, 0x3a0c, v21
	v_fma_f16 v19, v32, 0xb93d, -v19
	v_fmac_f16_e32 v21, 0xba0c, v6
	v_fmamk_f16 v24, v32, 0x36a6, v17
	v_add_f16_e32 v14, v31, v14
	v_mul_f16_e32 v31, 0x36a6, v0
	v_add_f16_e32 v18, v19, v18
	v_add_f16_e32 v19, v21, v27
	;; [unrolled: 1-line block ×3, first 2 shown]
	v_fma_f16 v17, v32, 0x36a6, -v17
	v_mul_f16_e32 v24, 0xbbeb, v29
	v_mul_f16_e32 v0, 0xb08e, v0
	v_add_f16_e32 v20, v20, v22
	v_fmamk_f16 v22, v6, 0xbb47, v31
	v_add_f16_e32 v17, v17, v26
	v_fmamk_f16 v25, v32, 0xb08e, v24
	v_fmamk_f16 v26, v6, 0x3beb, v0
	v_fma_f16 v24, v32, 0xb08e, -v24
	v_fmac_f16_e32 v0, 0xbbeb, v6
	v_fmac_f16_e32 v31, 0x3b47, v6
	v_pack_b32_f16 v6, v11, v12
	v_add_f16_e32 v11, v25, v30
	v_add_f16_e32 v12, v26, v14
	;; [unrolled: 1-line block ×6, first 2 shown]
	v_pack_b32_f16 v2, v3, v5
	v_pack_b32_f16 v3, v7, v13
	v_pack_b32_f16 v7, v11, v12
	v_pack_b32_f16 v11, v1, v0
	v_add_nc_u32_e32 v1, 0x200, v40
	v_add_nc_u32_e32 v0, 0x400, v40
	ds_store_b32 v40, v6
	v_pack_b32_f16 v5, v15, v20
	v_pack_b32_f16 v6, v21, v22
	;; [unrolled: 1-line block ×6, first 2 shown]
	ds_store_2addr_b32 v40, v2, v3 offset0:51 offset1:102
	ds_store_2addr_b32 v40, v5, v6 offset0:153 offset1:204
	;; [unrolled: 1-line block ×5, first 2 shown]
	global_wb scope:SCOPE_SE
	s_wait_dscnt 0x0
	s_barrier_signal -1
	s_barrier_wait -1
	global_inv scope:SCOPE_SE
	s_and_b32 exec_lo, exec_lo, vcc_lo
	s_cbranch_execz .LBB0_23
; %bb.22:
	global_load_b32 v2, v37, s[8:9]
	ds_load_b32 v3, v40
	s_mov_b32 s10, 0x4bc01d34
	s_mov_b32 s11, 0x3f5d347a
	v_mad_co_u64_u32 v[9:10], null, s4, v38, 0
	s_wait_dscnt 0x0
	v_lshrrev_b32_e32 v4, 16, v3
	s_wait_loadcnt 0x0
	v_lshrrev_b32_e32 v5, 16, v2
	s_delay_alu instid0(VALU_DEP_1) | instskip(SKIP_1) | instid1(VALU_DEP_2)
	v_mul_f16_e32 v6, v4, v5
	v_mul_f16_e32 v5, v3, v5
	v_fmac_f16_e32 v6, v3, v2
	s_delay_alu instid0(VALU_DEP_2) | instskip(NEXT) | instid1(VALU_DEP_2)
	v_fma_f16 v2, v2, v4, -v5
	v_cvt_f32_f16_e32 v3, v6
	s_delay_alu instid0(VALU_DEP_2) | instskip(SKIP_1) | instid1(VALU_DEP_3)
	v_cvt_f32_f16_e32 v4, v2
	v_mad_co_u64_u32 v[6:7], null, s6, v8, 0
	v_cvt_f64_f32_e32 v[2:3], v3
	s_delay_alu instid0(VALU_DEP_3) | instskip(NEXT) | instid1(VALU_DEP_3)
	v_cvt_f64_f32_e32 v[4:5], v4
	v_mad_co_u64_u32 v[7:8], null, s7, v8, v[7:8]
	s_delay_alu instid0(VALU_DEP_1) | instskip(SKIP_1) | instid1(VALU_DEP_4)
	v_lshlrev_b64_e32 v[6:7], 2, v[6:7]
	s_wait_alu 0xfffe
	v_mul_f64_e32 v[2:3], s[10:11], v[2:3]
	s_delay_alu instid0(VALU_DEP_4) | instskip(NEXT) | instid1(VALU_DEP_2)
	v_mul_f64_e32 v[4:5], s[10:11], v[4:5]
	v_and_or_b32 v2, 0x1ff, v3, v2
	s_delay_alu instid0(VALU_DEP_2)
	v_and_or_b32 v4, 0x1ff, v5, v4
	v_bfe_u32 v14, v5, 20, 11
	v_lshrrev_b32_e32 v11, 8, v3
	v_bfe_u32 v12, v3, 20, 11
	v_cmp_ne_u32_e32 vcc_lo, 0, v2
	v_lshrrev_b32_e32 v13, 8, v5
	v_sub_nc_u32_e32 v16, 0x3f1, v14
	v_add_nc_u32_e32 v14, 0xfffffc10, v14
	v_lshrrev_b32_e32 v5, 16, v5
	v_cndmask_b32_e64 v15, 0, 1, vcc_lo
	v_cmp_ne_u32_e32 vcc_lo, 0, v4
	s_delay_alu instid0(VALU_DEP_2) | instskip(SKIP_2) | instid1(VALU_DEP_1)
	v_and_or_b32 v15, 0xffe, v11, v15
	s_wait_alu 0xfffd
	v_cndmask_b32_e64 v4, 0, 1, vcc_lo
	v_and_or_b32 v4, 0xffe, v13, v4
	v_med3_i32 v13, v16, 0, 13
	v_mov_b32_e32 v2, v10
	v_sub_nc_u32_e32 v10, 0x3f1, v12
	v_or_b32_e32 v16, 0x1000, v15
	v_or_b32_e32 v17, 0x1000, v4
	s_delay_alu instid0(VALU_DEP_3) | instskip(SKIP_1) | instid1(VALU_DEP_3)
	v_med3_i32 v8, v10, 0, 13
	v_mad_co_u64_u32 v[10:11], null, s5, v38, v[2:3]
	v_lshrrev_b32_e32 v11, v13, v17
	s_mul_u64 s[4:5], s[4:5], 0x84
	s_delay_alu instid0(VALU_DEP_3) | instskip(NEXT) | instid1(VALU_DEP_2)
	v_lshrrev_b32_e32 v2, v8, v16
	v_lshlrev_b32_e32 v13, v13, v11
	s_delay_alu instid0(VALU_DEP_2) | instskip(NEXT) | instid1(VALU_DEP_1)
	v_lshlrev_b32_e32 v8, v8, v2
	v_cmp_ne_u32_e32 vcc_lo, v8, v16
	s_wait_alu 0xfffd
	v_cndmask_b32_e64 v8, 0, 1, vcc_lo
	v_cmp_ne_u32_e32 vcc_lo, v13, v17
	s_delay_alu instid0(VALU_DEP_2) | instskip(SKIP_3) | instid1(VALU_DEP_2)
	v_or_b32_e32 v2, v2, v8
	s_wait_alu 0xfffd
	v_cndmask_b32_e64 v13, 0, 1, vcc_lo
	v_lshl_or_b32 v8, v14, 12, v4
	v_or_b32_e32 v11, v11, v13
	v_add_nc_u32_e32 v12, 0xfffffc10, v12
	v_lshrrev_b32_e32 v13, 16, v3
	s_delay_alu instid0(VALU_DEP_2) | instskip(SKIP_2) | instid1(VALU_DEP_2)
	v_lshl_or_b32 v16, v12, 12, v15
	v_cmp_gt_i32_e32 vcc_lo, 1, v12
	s_wait_alu 0xfffd
	v_cndmask_b32_e32 v2, v16, v2, vcc_lo
	v_cmp_gt_i32_e32 vcc_lo, 1, v14
	s_wait_alu 0xfffd
	v_cndmask_b32_e32 v3, v8, v11, vcc_lo
	v_cmp_ne_u32_e32 vcc_lo, 0, v15
	s_delay_alu instid0(VALU_DEP_2)
	v_and_b32_e32 v15, 7, v3
	s_wait_alu 0xfffd
	v_cndmask_b32_e64 v8, 0, 1, vcc_lo
	v_cmp_ne_u32_e32 vcc_lo, 0, v4
	v_lshrrev_b32_e32 v3, 2, v3
	v_cmp_lt_i32_e64 s1, 5, v15
	s_delay_alu instid0(VALU_DEP_4)
	v_lshl_or_b32 v8, v8, 9, 0x7c00
	v_and_b32_e32 v11, 7, v2
	s_wait_alu 0xfffd
	v_cndmask_b32_e64 v4, 0, 1, vcc_lo
	v_lshrrev_b32_e32 v2, 2, v2
	v_cmp_eq_u32_e64 s2, 3, v15
	v_cmp_lt_i32_e32 vcc_lo, 5, v11
	v_cmp_eq_u32_e64 s0, 3, v11
	v_lshl_or_b32 v4, v4, 9, 0x7c00
	s_delay_alu instid0(VALU_DEP_2)
	s_or_b32 vcc_lo, s0, vcc_lo
	s_wait_alu 0xfffe
	v_add_co_ci_u32_e32 v2, vcc_lo, 0, v2, vcc_lo
	s_or_b32 vcc_lo, s2, s1
	s_wait_alu 0xfffe
	v_add_co_ci_u32_e32 v3, vcc_lo, 0, v3, vcc_lo
	v_cmp_gt_i32_e32 vcc_lo, 31, v12
	s_wait_alu 0xfffd
	v_cndmask_b32_e32 v2, 0x7c00, v2, vcc_lo
	v_cmp_gt_i32_e32 vcc_lo, 31, v14
	s_wait_alu 0xfffd
	v_cndmask_b32_e32 v11, 0x7c00, v3, vcc_lo
	v_cmp_eq_u32_e32 vcc_lo, 0x40f, v12
	s_wait_alu 0xfffd
	v_cndmask_b32_e32 v8, v2, v8, vcc_lo
	v_cmp_eq_u32_e32 vcc_lo, 0x40f, v14
	v_lshlrev_b64_e32 v[2:3], 2, v[9:10]
	s_delay_alu instid0(VALU_DEP_3)
	v_and_or_b32 v8, 0x8000, v13, v8
	s_wait_alu 0xfffd
	v_cndmask_b32_e32 v4, v11, v4, vcc_lo
	v_add_co_u32 v6, vcc_lo, s12, v6
	s_wait_alu 0xfffd
	v_add_co_ci_u32_e32 v7, vcc_lo, s13, v7, vcc_lo
	s_delay_alu instid0(VALU_DEP_3) | instskip(SKIP_4) | instid1(VALU_DEP_3)
	v_and_or_b32 v4, 0x8000, v5, v4
	v_and_b32_e32 v5, 0xffff, v8
	v_add_co_u32 v2, vcc_lo, v6, v2
	s_wait_alu 0xfffd
	v_add_co_ci_u32_e32 v3, vcc_lo, v7, v3, vcc_lo
	v_lshl_or_b32 v4, v4, 16, v5
	global_store_b32 v[2:3], v4, off
	global_load_b32 v6, v37, s[8:9] offset:132
	ds_load_2addr_b32 v[4:5], v40 offset0:33 offset1:66
	s_wait_dscnt 0x0
	v_lshrrev_b32_e32 v7, 16, v4
	s_wait_loadcnt 0x0
	v_lshrrev_b32_e32 v8, 16, v6
	s_delay_alu instid0(VALU_DEP_1) | instskip(SKIP_1) | instid1(VALU_DEP_2)
	v_mul_f16_e32 v9, v7, v8
	v_mul_f16_e32 v8, v4, v8
	v_fmac_f16_e32 v9, v4, v6
	s_delay_alu instid0(VALU_DEP_2) | instskip(NEXT) | instid1(VALU_DEP_2)
	v_fma_f16 v4, v6, v7, -v8
	v_cvt_f32_f16_e32 v6, v9
	s_delay_alu instid0(VALU_DEP_2) | instskip(NEXT) | instid1(VALU_DEP_2)
	v_cvt_f32_f16_e32 v4, v4
	v_cvt_f64_f32_e32 v[6:7], v6
	s_delay_alu instid0(VALU_DEP_2) | instskip(NEXT) | instid1(VALU_DEP_2)
	v_cvt_f64_f32_e32 v[8:9], v4
	v_mul_f64_e32 v[6:7], s[10:11], v[6:7]
	s_delay_alu instid0(VALU_DEP_2) | instskip(NEXT) | instid1(VALU_DEP_2)
	v_mul_f64_e32 v[8:9], s[10:11], v[8:9]
	v_and_or_b32 v4, 0x1ff, v7, v6
	s_delay_alu instid0(VALU_DEP_2)
	v_and_or_b32 v8, 0x1ff, v9, v8
	v_lshrrev_b32_e32 v6, 8, v7
	v_bfe_u32 v10, v7, 20, 11
	v_lshrrev_b32_e32 v11, 8, v9
	v_cmp_ne_u32_e32 vcc_lo, 0, v4
	v_bfe_u32 v12, v9, 20, 11
	v_lshrrev_b32_e32 v7, 16, v7
	v_sub_nc_u32_e32 v13, 0x3f1, v10
	v_add_nc_u32_e32 v10, 0xfffffc10, v10
	s_wait_alu 0xfffd
	v_cndmask_b32_e64 v4, 0, 1, vcc_lo
	v_cmp_ne_u32_e32 vcc_lo, 0, v8
	v_lshrrev_b32_e32 v9, 16, v9
	s_delay_alu instid0(VALU_DEP_3) | instskip(SKIP_4) | instid1(VALU_DEP_3)
	v_and_or_b32 v4, 0xffe, v6, v4
	s_wait_alu 0xfffd
	v_cndmask_b32_e64 v8, 0, 1, vcc_lo
	v_sub_nc_u32_e32 v6, 0x3f1, v12
	v_add_nc_u32_e32 v12, 0xfffffc10, v12
	v_and_or_b32 v8, 0xffe, v11, v8
	v_med3_i32 v11, v13, 0, 13
	v_or_b32_e32 v13, 0x1000, v4
	v_med3_i32 v6, v6, 0, 13
	s_delay_alu instid0(VALU_DEP_4) | instskip(NEXT) | instid1(VALU_DEP_3)
	v_or_b32_e32 v14, 0x1000, v8
	v_lshrrev_b32_e32 v15, v11, v13
	s_delay_alu instid0(VALU_DEP_2) | instskip(NEXT) | instid1(VALU_DEP_2)
	v_lshrrev_b32_e32 v16, v6, v14
	v_lshlrev_b32_e32 v11, v11, v15
	s_delay_alu instid0(VALU_DEP_2) | instskip(NEXT) | instid1(VALU_DEP_2)
	v_lshlrev_b32_e32 v6, v6, v16
	v_cmp_ne_u32_e32 vcc_lo, v11, v13
	v_lshl_or_b32 v13, v10, 12, v4
	s_wait_alu 0xfffd
	v_cndmask_b32_e64 v11, 0, 1, vcc_lo
	v_cmp_ne_u32_e32 vcc_lo, v6, v14
	v_lshl_or_b32 v14, v12, 12, v8
	s_delay_alu instid0(VALU_DEP_3) | instskip(SKIP_3) | instid1(VALU_DEP_2)
	v_or_b32_e32 v11, v15, v11
	s_wait_alu 0xfffd
	v_cndmask_b32_e64 v6, 0, 1, vcc_lo
	v_cmp_gt_i32_e32 vcc_lo, 1, v10
	v_or_b32_e32 v6, v16, v6
	s_wait_alu 0xfffd
	v_cndmask_b32_e32 v11, v13, v11, vcc_lo
	v_cmp_gt_i32_e32 vcc_lo, 1, v12
	s_wait_alu 0xfffd
	s_delay_alu instid0(VALU_DEP_2) | instskip(SKIP_2) | instid1(VALU_DEP_3)
	v_dual_cndmask_b32 v6, v14, v6 :: v_dual_and_b32 v13, 7, v11
	v_cmp_ne_u32_e32 vcc_lo, 0, v4
	v_lshrrev_b32_e32 v11, 2, v11
	v_cmp_eq_u32_e64 s0, 3, v13
	s_delay_alu instid0(VALU_DEP_4)
	v_and_b32_e32 v14, 7, v6
	s_wait_alu 0xfffd
	v_cndmask_b32_e64 v4, 0, 1, vcc_lo
	v_cmp_ne_u32_e32 vcc_lo, 0, v8
	v_lshrrev_b32_e32 v6, 2, v6
	v_cmp_lt_i32_e64 s1, 5, v14
	v_cmp_eq_u32_e64 s2, 3, v14
	s_wait_alu 0xfffd
	v_cndmask_b32_e64 v8, 0, 1, vcc_lo
	v_cmp_lt_i32_e32 vcc_lo, 5, v13
	v_lshl_or_b32 v4, v4, 9, 0x7c00
	s_delay_alu instid0(VALU_DEP_3)
	v_lshl_or_b32 v8, v8, 9, 0x7c00
	s_or_b32 vcc_lo, s0, vcc_lo
	s_wait_alu 0xfffe
	v_add_co_ci_u32_e32 v11, vcc_lo, 0, v11, vcc_lo
	s_or_b32 vcc_lo, s2, s1
	s_wait_alu 0xfffe
	v_add_co_ci_u32_e32 v6, vcc_lo, 0, v6, vcc_lo
	v_cmp_gt_i32_e32 vcc_lo, 31, v10
	s_wait_alu 0xfffd
	v_cndmask_b32_e32 v11, 0x7c00, v11, vcc_lo
	v_cmp_gt_i32_e32 vcc_lo, 31, v12
	s_wait_alu 0xfffd
	v_cndmask_b32_e32 v6, 0x7c00, v6, vcc_lo
	v_cmp_eq_u32_e32 vcc_lo, 0x40f, v10
	s_wait_alu 0xfffd
	v_cndmask_b32_e32 v4, v11, v4, vcc_lo
	v_cmp_eq_u32_e32 vcc_lo, 0x40f, v12
	s_delay_alu instid0(VALU_DEP_2)
	v_and_or_b32 v4, 0x8000, v7, v4
	s_wait_alu 0xfffd
	v_cndmask_b32_e32 v6, v6, v8, vcc_lo
	v_add_co_u32 v2, vcc_lo, v2, s4
	s_wait_alu 0xfffd
	v_add_co_ci_u32_e32 v3, vcc_lo, s5, v3, vcc_lo
	s_delay_alu instid0(VALU_DEP_3) | instskip(SKIP_1) | instid1(VALU_DEP_1)
	v_and_or_b32 v6, 0x8000, v9, v6
	v_and_b32_e32 v4, 0xffff, v4
	v_lshl_or_b32 v4, v6, 16, v4
	v_lshrrev_b32_e32 v6, 16, v5
	global_store_b32 v[2:3], v4, off
	global_load_b32 v4, v37, s[8:9] offset:264
	s_wait_loadcnt 0x0
	v_lshrrev_b32_e32 v7, 16, v4
	s_delay_alu instid0(VALU_DEP_1) | instskip(SKIP_1) | instid1(VALU_DEP_2)
	v_mul_f16_e32 v8, v6, v7
	v_mul_f16_e32 v7, v5, v7
	v_fmac_f16_e32 v8, v5, v4
	s_delay_alu instid0(VALU_DEP_2) | instskip(NEXT) | instid1(VALU_DEP_2)
	v_fma_f16 v4, v4, v6, -v7
	v_cvt_f32_f16_e32 v5, v8
	s_delay_alu instid0(VALU_DEP_2) | instskip(NEXT) | instid1(VALU_DEP_2)
	v_cvt_f32_f16_e32 v6, v4
	v_cvt_f64_f32_e32 v[4:5], v5
	s_delay_alu instid0(VALU_DEP_2) | instskip(NEXT) | instid1(VALU_DEP_2)
	v_cvt_f64_f32_e32 v[6:7], v6
	v_mul_f64_e32 v[4:5], s[10:11], v[4:5]
	s_delay_alu instid0(VALU_DEP_2) | instskip(NEXT) | instid1(VALU_DEP_2)
	v_mul_f64_e32 v[6:7], s[10:11], v[6:7]
	v_and_or_b32 v4, 0x1ff, v5, v4
	s_delay_alu instid0(VALU_DEP_2)
	v_and_or_b32 v6, 0x1ff, v7, v6
	v_lshrrev_b32_e32 v8, 8, v5
	v_bfe_u32 v9, v5, 20, 11
	v_lshrrev_b32_e32 v10, 8, v7
	v_cmp_ne_u32_e32 vcc_lo, 0, v4
	v_bfe_u32 v11, v7, 20, 11
	v_lshrrev_b32_e32 v5, 16, v5
	v_sub_nc_u32_e32 v12, 0x3f1, v9
	v_add_nc_u32_e32 v9, 0xfffffc10, v9
	s_wait_alu 0xfffd
	v_cndmask_b32_e64 v4, 0, 1, vcc_lo
	v_cmp_ne_u32_e32 vcc_lo, 0, v6
	v_lshrrev_b32_e32 v7, 16, v7
	s_delay_alu instid0(VALU_DEP_3) | instskip(SKIP_4) | instid1(VALU_DEP_3)
	v_and_or_b32 v4, 0xffe, v8, v4
	s_wait_alu 0xfffd
	v_cndmask_b32_e64 v6, 0, 1, vcc_lo
	v_sub_nc_u32_e32 v8, 0x3f1, v11
	v_add_nc_u32_e32 v11, 0xfffffc10, v11
	v_and_or_b32 v6, 0xffe, v10, v6
	v_med3_i32 v10, v12, 0, 13
	v_or_b32_e32 v12, 0x1000, v4
	v_med3_i32 v8, v8, 0, 13
	s_delay_alu instid0(VALU_DEP_4) | instskip(NEXT) | instid1(VALU_DEP_3)
	v_or_b32_e32 v13, 0x1000, v6
	v_lshrrev_b32_e32 v14, v10, v12
	s_delay_alu instid0(VALU_DEP_2) | instskip(NEXT) | instid1(VALU_DEP_2)
	v_lshrrev_b32_e32 v15, v8, v13
	v_lshlrev_b32_e32 v10, v10, v14
	s_delay_alu instid0(VALU_DEP_2) | instskip(NEXT) | instid1(VALU_DEP_2)
	v_lshlrev_b32_e32 v8, v8, v15
	v_cmp_ne_u32_e32 vcc_lo, v10, v12
	v_lshl_or_b32 v12, v9, 12, v4
	s_wait_alu 0xfffd
	v_cndmask_b32_e64 v10, 0, 1, vcc_lo
	v_cmp_ne_u32_e32 vcc_lo, v8, v13
	v_lshl_or_b32 v13, v11, 12, v6
	s_delay_alu instid0(VALU_DEP_3) | instskip(SKIP_3) | instid1(VALU_DEP_2)
	v_or_b32_e32 v10, v14, v10
	s_wait_alu 0xfffd
	v_cndmask_b32_e64 v8, 0, 1, vcc_lo
	v_cmp_gt_i32_e32 vcc_lo, 1, v9
	v_or_b32_e32 v8, v15, v8
	s_wait_alu 0xfffd
	v_cndmask_b32_e32 v10, v12, v10, vcc_lo
	v_cmp_gt_i32_e32 vcc_lo, 1, v11
	s_delay_alu instid0(VALU_DEP_2)
	v_and_b32_e32 v12, 7, v10
	s_wait_alu 0xfffd
	v_cndmask_b32_e32 v8, v13, v8, vcc_lo
	v_cmp_ne_u32_e32 vcc_lo, 0, v4
	v_lshrrev_b32_e32 v10, 2, v10
	v_cmp_eq_u32_e64 s0, 3, v12
	s_delay_alu instid0(VALU_DEP_4)
	v_and_b32_e32 v13, 7, v8
	s_wait_alu 0xfffd
	v_cndmask_b32_e64 v4, 0, 1, vcc_lo
	v_cmp_ne_u32_e32 vcc_lo, 0, v6
	v_lshrrev_b32_e32 v8, 2, v8
	v_cmp_lt_i32_e64 s1, 5, v13
	v_cmp_eq_u32_e64 s2, 3, v13
	s_wait_alu 0xfffd
	v_cndmask_b32_e64 v6, 0, 1, vcc_lo
	v_cmp_lt_i32_e32 vcc_lo, 5, v12
	v_lshl_or_b32 v4, v4, 9, 0x7c00
	s_delay_alu instid0(VALU_DEP_3)
	v_lshl_or_b32 v6, v6, 9, 0x7c00
	s_or_b32 vcc_lo, s0, vcc_lo
	s_wait_alu 0xfffe
	v_add_co_ci_u32_e32 v10, vcc_lo, 0, v10, vcc_lo
	s_or_b32 vcc_lo, s2, s1
	s_wait_alu 0xfffe
	v_add_co_ci_u32_e32 v8, vcc_lo, 0, v8, vcc_lo
	v_cmp_gt_i32_e32 vcc_lo, 31, v9
	s_wait_alu 0xfffd
	v_cndmask_b32_e32 v10, 0x7c00, v10, vcc_lo
	v_cmp_gt_i32_e32 vcc_lo, 31, v11
	s_wait_alu 0xfffd
	v_cndmask_b32_e32 v8, 0x7c00, v8, vcc_lo
	v_cmp_eq_u32_e32 vcc_lo, 0x40f, v9
	s_wait_alu 0xfffd
	v_cndmask_b32_e32 v4, v10, v4, vcc_lo
	v_cmp_eq_u32_e32 vcc_lo, 0x40f, v11
	s_delay_alu instid0(VALU_DEP_2)
	v_and_or_b32 v4, 0x8000, v5, v4
	s_wait_alu 0xfffd
	v_cndmask_b32_e32 v6, v8, v6, vcc_lo
	v_add_co_u32 v2, vcc_lo, v2, s4
	s_wait_alu 0xfffd
	v_add_co_ci_u32_e32 v3, vcc_lo, s5, v3, vcc_lo
	s_delay_alu instid0(VALU_DEP_3) | instskip(SKIP_1) | instid1(VALU_DEP_1)
	v_and_or_b32 v5, 0x8000, v7, v6
	v_and_b32_e32 v4, 0xffff, v4
	v_lshl_or_b32 v4, v5, 16, v4
	global_store_b32 v[2:3], v4, off
	global_load_b32 v6, v37, s[8:9] offset:396
	ds_load_2addr_b32 v[4:5], v40 offset0:99 offset1:132
	s_wait_dscnt 0x0
	v_lshrrev_b32_e32 v7, 16, v4
	s_wait_loadcnt 0x0
	v_lshrrev_b32_e32 v8, 16, v6
	s_delay_alu instid0(VALU_DEP_1) | instskip(SKIP_1) | instid1(VALU_DEP_2)
	v_mul_f16_e32 v9, v7, v8
	v_mul_f16_e32 v8, v4, v8
	v_fmac_f16_e32 v9, v4, v6
	s_delay_alu instid0(VALU_DEP_2) | instskip(NEXT) | instid1(VALU_DEP_2)
	v_fma_f16 v4, v6, v7, -v8
	v_cvt_f32_f16_e32 v6, v9
	s_delay_alu instid0(VALU_DEP_2) | instskip(NEXT) | instid1(VALU_DEP_2)
	v_cvt_f32_f16_e32 v4, v4
	v_cvt_f64_f32_e32 v[6:7], v6
	s_delay_alu instid0(VALU_DEP_2) | instskip(NEXT) | instid1(VALU_DEP_2)
	v_cvt_f64_f32_e32 v[8:9], v4
	v_mul_f64_e32 v[6:7], s[10:11], v[6:7]
	s_delay_alu instid0(VALU_DEP_2) | instskip(NEXT) | instid1(VALU_DEP_2)
	v_mul_f64_e32 v[8:9], s[10:11], v[8:9]
	v_and_or_b32 v4, 0x1ff, v7, v6
	s_delay_alu instid0(VALU_DEP_2)
	v_and_or_b32 v8, 0x1ff, v9, v8
	v_lshrrev_b32_e32 v6, 8, v7
	v_bfe_u32 v10, v7, 20, 11
	v_lshrrev_b32_e32 v11, 8, v9
	v_cmp_ne_u32_e32 vcc_lo, 0, v4
	v_bfe_u32 v12, v9, 20, 11
	v_lshrrev_b32_e32 v7, 16, v7
	v_sub_nc_u32_e32 v13, 0x3f1, v10
	v_add_nc_u32_e32 v10, 0xfffffc10, v10
	s_wait_alu 0xfffd
	v_cndmask_b32_e64 v4, 0, 1, vcc_lo
	v_cmp_ne_u32_e32 vcc_lo, 0, v8
	v_lshrrev_b32_e32 v9, 16, v9
	s_delay_alu instid0(VALU_DEP_3) | instskip(SKIP_4) | instid1(VALU_DEP_3)
	v_and_or_b32 v4, 0xffe, v6, v4
	s_wait_alu 0xfffd
	v_cndmask_b32_e64 v8, 0, 1, vcc_lo
	v_sub_nc_u32_e32 v6, 0x3f1, v12
	v_add_nc_u32_e32 v12, 0xfffffc10, v12
	v_and_or_b32 v8, 0xffe, v11, v8
	v_med3_i32 v11, v13, 0, 13
	v_or_b32_e32 v13, 0x1000, v4
	v_med3_i32 v6, v6, 0, 13
	s_delay_alu instid0(VALU_DEP_4) | instskip(NEXT) | instid1(VALU_DEP_3)
	v_or_b32_e32 v14, 0x1000, v8
	v_lshrrev_b32_e32 v15, v11, v13
	s_delay_alu instid0(VALU_DEP_2) | instskip(NEXT) | instid1(VALU_DEP_2)
	v_lshrrev_b32_e32 v16, v6, v14
	v_lshlrev_b32_e32 v11, v11, v15
	s_delay_alu instid0(VALU_DEP_2) | instskip(NEXT) | instid1(VALU_DEP_2)
	v_lshlrev_b32_e32 v6, v6, v16
	v_cmp_ne_u32_e32 vcc_lo, v11, v13
	v_lshl_or_b32 v13, v10, 12, v4
	s_wait_alu 0xfffd
	v_cndmask_b32_e64 v11, 0, 1, vcc_lo
	v_cmp_ne_u32_e32 vcc_lo, v6, v14
	v_lshl_or_b32 v14, v12, 12, v8
	s_delay_alu instid0(VALU_DEP_3) | instskip(SKIP_3) | instid1(VALU_DEP_2)
	v_or_b32_e32 v11, v15, v11
	s_wait_alu 0xfffd
	v_cndmask_b32_e64 v6, 0, 1, vcc_lo
	v_cmp_gt_i32_e32 vcc_lo, 1, v10
	v_or_b32_e32 v6, v16, v6
	s_wait_alu 0xfffd
	v_cndmask_b32_e32 v11, v13, v11, vcc_lo
	v_cmp_gt_i32_e32 vcc_lo, 1, v12
	s_wait_alu 0xfffd
	s_delay_alu instid0(VALU_DEP_2) | instskip(SKIP_2) | instid1(VALU_DEP_3)
	v_dual_cndmask_b32 v6, v14, v6 :: v_dual_and_b32 v13, 7, v11
	v_cmp_ne_u32_e32 vcc_lo, 0, v4
	v_lshrrev_b32_e32 v11, 2, v11
	v_cmp_eq_u32_e64 s0, 3, v13
	s_delay_alu instid0(VALU_DEP_4)
	v_and_b32_e32 v14, 7, v6
	s_wait_alu 0xfffd
	v_cndmask_b32_e64 v4, 0, 1, vcc_lo
	v_cmp_ne_u32_e32 vcc_lo, 0, v8
	v_lshrrev_b32_e32 v6, 2, v6
	v_cmp_lt_i32_e64 s1, 5, v14
	v_cmp_eq_u32_e64 s2, 3, v14
	s_wait_alu 0xfffd
	v_cndmask_b32_e64 v8, 0, 1, vcc_lo
	v_cmp_lt_i32_e32 vcc_lo, 5, v13
	v_lshl_or_b32 v4, v4, 9, 0x7c00
	s_delay_alu instid0(VALU_DEP_3)
	v_lshl_or_b32 v8, v8, 9, 0x7c00
	s_or_b32 vcc_lo, s0, vcc_lo
	s_wait_alu 0xfffe
	v_add_co_ci_u32_e32 v11, vcc_lo, 0, v11, vcc_lo
	s_or_b32 vcc_lo, s2, s1
	s_wait_alu 0xfffe
	v_add_co_ci_u32_e32 v6, vcc_lo, 0, v6, vcc_lo
	v_cmp_gt_i32_e32 vcc_lo, 31, v10
	s_wait_alu 0xfffd
	v_cndmask_b32_e32 v11, 0x7c00, v11, vcc_lo
	v_cmp_gt_i32_e32 vcc_lo, 31, v12
	s_wait_alu 0xfffd
	v_cndmask_b32_e32 v6, 0x7c00, v6, vcc_lo
	v_cmp_eq_u32_e32 vcc_lo, 0x40f, v10
	s_wait_alu 0xfffd
	v_cndmask_b32_e32 v4, v11, v4, vcc_lo
	v_cmp_eq_u32_e32 vcc_lo, 0x40f, v12
	s_delay_alu instid0(VALU_DEP_2)
	v_and_or_b32 v4, 0x8000, v7, v4
	s_wait_alu 0xfffd
	v_cndmask_b32_e32 v6, v6, v8, vcc_lo
	v_add_co_u32 v2, vcc_lo, v2, s4
	s_wait_alu 0xfffd
	v_add_co_ci_u32_e32 v3, vcc_lo, s5, v3, vcc_lo
	s_delay_alu instid0(VALU_DEP_3) | instskip(SKIP_1) | instid1(VALU_DEP_1)
	v_and_or_b32 v6, 0x8000, v9, v6
	v_and_b32_e32 v4, 0xffff, v4
	v_lshl_or_b32 v4, v6, 16, v4
	v_lshrrev_b32_e32 v6, 16, v5
	global_store_b32 v[2:3], v4, off
	global_load_b32 v4, v37, s[8:9] offset:528
	s_wait_loadcnt 0x0
	v_lshrrev_b32_e32 v7, 16, v4
	s_delay_alu instid0(VALU_DEP_1) | instskip(SKIP_1) | instid1(VALU_DEP_2)
	v_mul_f16_e32 v8, v6, v7
	v_mul_f16_e32 v7, v5, v7
	v_fmac_f16_e32 v8, v5, v4
	s_delay_alu instid0(VALU_DEP_2) | instskip(NEXT) | instid1(VALU_DEP_2)
	v_fma_f16 v4, v4, v6, -v7
	v_cvt_f32_f16_e32 v5, v8
	s_delay_alu instid0(VALU_DEP_2) | instskip(NEXT) | instid1(VALU_DEP_2)
	v_cvt_f32_f16_e32 v6, v4
	v_cvt_f64_f32_e32 v[4:5], v5
	s_delay_alu instid0(VALU_DEP_2) | instskip(NEXT) | instid1(VALU_DEP_2)
	v_cvt_f64_f32_e32 v[6:7], v6
	v_mul_f64_e32 v[4:5], s[10:11], v[4:5]
	s_delay_alu instid0(VALU_DEP_2) | instskip(NEXT) | instid1(VALU_DEP_2)
	v_mul_f64_e32 v[6:7], s[10:11], v[6:7]
	v_and_or_b32 v4, 0x1ff, v5, v4
	s_delay_alu instid0(VALU_DEP_2)
	v_and_or_b32 v6, 0x1ff, v7, v6
	v_lshrrev_b32_e32 v8, 8, v5
	v_bfe_u32 v9, v5, 20, 11
	v_lshrrev_b32_e32 v10, 8, v7
	v_cmp_ne_u32_e32 vcc_lo, 0, v4
	v_bfe_u32 v11, v7, 20, 11
	v_lshrrev_b32_e32 v5, 16, v5
	v_sub_nc_u32_e32 v12, 0x3f1, v9
	v_add_nc_u32_e32 v9, 0xfffffc10, v9
	s_wait_alu 0xfffd
	v_cndmask_b32_e64 v4, 0, 1, vcc_lo
	v_cmp_ne_u32_e32 vcc_lo, 0, v6
	v_lshrrev_b32_e32 v7, 16, v7
	s_delay_alu instid0(VALU_DEP_3) | instskip(SKIP_4) | instid1(VALU_DEP_3)
	v_and_or_b32 v4, 0xffe, v8, v4
	s_wait_alu 0xfffd
	v_cndmask_b32_e64 v6, 0, 1, vcc_lo
	v_sub_nc_u32_e32 v8, 0x3f1, v11
	v_add_nc_u32_e32 v11, 0xfffffc10, v11
	v_and_or_b32 v6, 0xffe, v10, v6
	v_med3_i32 v10, v12, 0, 13
	v_or_b32_e32 v12, 0x1000, v4
	v_med3_i32 v8, v8, 0, 13
	s_delay_alu instid0(VALU_DEP_4) | instskip(NEXT) | instid1(VALU_DEP_3)
	v_or_b32_e32 v13, 0x1000, v6
	v_lshrrev_b32_e32 v14, v10, v12
	s_delay_alu instid0(VALU_DEP_2) | instskip(NEXT) | instid1(VALU_DEP_2)
	v_lshrrev_b32_e32 v15, v8, v13
	v_lshlrev_b32_e32 v10, v10, v14
	s_delay_alu instid0(VALU_DEP_2) | instskip(NEXT) | instid1(VALU_DEP_2)
	v_lshlrev_b32_e32 v8, v8, v15
	v_cmp_ne_u32_e32 vcc_lo, v10, v12
	v_lshl_or_b32 v12, v9, 12, v4
	s_wait_alu 0xfffd
	v_cndmask_b32_e64 v10, 0, 1, vcc_lo
	v_cmp_ne_u32_e32 vcc_lo, v8, v13
	v_lshl_or_b32 v13, v11, 12, v6
	s_delay_alu instid0(VALU_DEP_3) | instskip(SKIP_3) | instid1(VALU_DEP_2)
	v_or_b32_e32 v10, v14, v10
	s_wait_alu 0xfffd
	v_cndmask_b32_e64 v8, 0, 1, vcc_lo
	v_cmp_gt_i32_e32 vcc_lo, 1, v9
	v_or_b32_e32 v8, v15, v8
	s_wait_alu 0xfffd
	v_cndmask_b32_e32 v10, v12, v10, vcc_lo
	v_cmp_gt_i32_e32 vcc_lo, 1, v11
	s_delay_alu instid0(VALU_DEP_2)
	v_and_b32_e32 v12, 7, v10
	s_wait_alu 0xfffd
	v_cndmask_b32_e32 v8, v13, v8, vcc_lo
	v_cmp_ne_u32_e32 vcc_lo, 0, v4
	v_lshrrev_b32_e32 v10, 2, v10
	v_cmp_eq_u32_e64 s0, 3, v12
	s_delay_alu instid0(VALU_DEP_4)
	v_and_b32_e32 v13, 7, v8
	s_wait_alu 0xfffd
	v_cndmask_b32_e64 v4, 0, 1, vcc_lo
	v_cmp_ne_u32_e32 vcc_lo, 0, v6
	v_lshrrev_b32_e32 v8, 2, v8
	v_cmp_lt_i32_e64 s1, 5, v13
	v_cmp_eq_u32_e64 s2, 3, v13
	s_wait_alu 0xfffd
	v_cndmask_b32_e64 v6, 0, 1, vcc_lo
	v_cmp_lt_i32_e32 vcc_lo, 5, v12
	v_lshl_or_b32 v4, v4, 9, 0x7c00
	s_delay_alu instid0(VALU_DEP_3)
	v_lshl_or_b32 v6, v6, 9, 0x7c00
	s_or_b32 vcc_lo, s0, vcc_lo
	s_wait_alu 0xfffe
	v_add_co_ci_u32_e32 v10, vcc_lo, 0, v10, vcc_lo
	s_or_b32 vcc_lo, s2, s1
	s_wait_alu 0xfffe
	v_add_co_ci_u32_e32 v8, vcc_lo, 0, v8, vcc_lo
	v_cmp_gt_i32_e32 vcc_lo, 31, v9
	s_wait_alu 0xfffd
	v_cndmask_b32_e32 v10, 0x7c00, v10, vcc_lo
	v_cmp_gt_i32_e32 vcc_lo, 31, v11
	s_wait_alu 0xfffd
	v_cndmask_b32_e32 v8, 0x7c00, v8, vcc_lo
	v_cmp_eq_u32_e32 vcc_lo, 0x40f, v9
	s_wait_alu 0xfffd
	v_cndmask_b32_e32 v4, v10, v4, vcc_lo
	v_cmp_eq_u32_e32 vcc_lo, 0x40f, v11
	s_delay_alu instid0(VALU_DEP_2)
	v_and_or_b32 v4, 0x8000, v5, v4
	s_wait_alu 0xfffd
	v_cndmask_b32_e32 v6, v8, v6, vcc_lo
	v_add_co_u32 v2, vcc_lo, v2, s4
	s_wait_alu 0xfffd
	v_add_co_ci_u32_e32 v3, vcc_lo, s5, v3, vcc_lo
	s_delay_alu instid0(VALU_DEP_3) | instskip(SKIP_1) | instid1(VALU_DEP_1)
	v_and_or_b32 v5, 0x8000, v7, v6
	v_and_b32_e32 v4, 0xffff, v4
	v_lshl_or_b32 v4, v5, 16, v4
	global_store_b32 v[2:3], v4, off
	global_load_b32 v6, v37, s[8:9] offset:660
	ds_load_2addr_b32 v[4:5], v40 offset0:165 offset1:198
	s_wait_dscnt 0x0
	v_lshrrev_b32_e32 v7, 16, v4
	s_wait_loadcnt 0x0
	v_lshrrev_b32_e32 v8, 16, v6
	s_delay_alu instid0(VALU_DEP_1) | instskip(SKIP_1) | instid1(VALU_DEP_2)
	v_mul_f16_e32 v9, v7, v8
	v_mul_f16_e32 v8, v4, v8
	v_fmac_f16_e32 v9, v4, v6
	s_delay_alu instid0(VALU_DEP_2) | instskip(NEXT) | instid1(VALU_DEP_2)
	v_fma_f16 v4, v6, v7, -v8
	v_cvt_f32_f16_e32 v6, v9
	s_delay_alu instid0(VALU_DEP_2) | instskip(NEXT) | instid1(VALU_DEP_2)
	v_cvt_f32_f16_e32 v4, v4
	v_cvt_f64_f32_e32 v[6:7], v6
	s_delay_alu instid0(VALU_DEP_2) | instskip(NEXT) | instid1(VALU_DEP_2)
	v_cvt_f64_f32_e32 v[8:9], v4
	v_mul_f64_e32 v[6:7], s[10:11], v[6:7]
	s_delay_alu instid0(VALU_DEP_2) | instskip(NEXT) | instid1(VALU_DEP_2)
	v_mul_f64_e32 v[8:9], s[10:11], v[8:9]
	v_and_or_b32 v4, 0x1ff, v7, v6
	s_delay_alu instid0(VALU_DEP_2)
	v_and_or_b32 v8, 0x1ff, v9, v8
	v_lshrrev_b32_e32 v6, 8, v7
	v_bfe_u32 v10, v7, 20, 11
	v_lshrrev_b32_e32 v11, 8, v9
	v_cmp_ne_u32_e32 vcc_lo, 0, v4
	v_bfe_u32 v12, v9, 20, 11
	v_lshrrev_b32_e32 v7, 16, v7
	v_sub_nc_u32_e32 v13, 0x3f1, v10
	v_add_nc_u32_e32 v10, 0xfffffc10, v10
	s_wait_alu 0xfffd
	v_cndmask_b32_e64 v4, 0, 1, vcc_lo
	v_cmp_ne_u32_e32 vcc_lo, 0, v8
	v_lshrrev_b32_e32 v9, 16, v9
	s_delay_alu instid0(VALU_DEP_3) | instskip(SKIP_4) | instid1(VALU_DEP_3)
	v_and_or_b32 v4, 0xffe, v6, v4
	s_wait_alu 0xfffd
	v_cndmask_b32_e64 v8, 0, 1, vcc_lo
	v_sub_nc_u32_e32 v6, 0x3f1, v12
	v_add_nc_u32_e32 v12, 0xfffffc10, v12
	v_and_or_b32 v8, 0xffe, v11, v8
	v_med3_i32 v11, v13, 0, 13
	v_or_b32_e32 v13, 0x1000, v4
	v_med3_i32 v6, v6, 0, 13
	s_delay_alu instid0(VALU_DEP_4) | instskip(NEXT) | instid1(VALU_DEP_3)
	v_or_b32_e32 v14, 0x1000, v8
	v_lshrrev_b32_e32 v15, v11, v13
	s_delay_alu instid0(VALU_DEP_2) | instskip(NEXT) | instid1(VALU_DEP_2)
	v_lshrrev_b32_e32 v16, v6, v14
	v_lshlrev_b32_e32 v11, v11, v15
	s_delay_alu instid0(VALU_DEP_2) | instskip(NEXT) | instid1(VALU_DEP_2)
	v_lshlrev_b32_e32 v6, v6, v16
	v_cmp_ne_u32_e32 vcc_lo, v11, v13
	v_lshl_or_b32 v13, v10, 12, v4
	s_wait_alu 0xfffd
	v_cndmask_b32_e64 v11, 0, 1, vcc_lo
	v_cmp_ne_u32_e32 vcc_lo, v6, v14
	v_lshl_or_b32 v14, v12, 12, v8
	s_delay_alu instid0(VALU_DEP_3) | instskip(SKIP_3) | instid1(VALU_DEP_2)
	v_or_b32_e32 v11, v15, v11
	s_wait_alu 0xfffd
	v_cndmask_b32_e64 v6, 0, 1, vcc_lo
	v_cmp_gt_i32_e32 vcc_lo, 1, v10
	v_or_b32_e32 v6, v16, v6
	s_wait_alu 0xfffd
	v_cndmask_b32_e32 v11, v13, v11, vcc_lo
	v_cmp_gt_i32_e32 vcc_lo, 1, v12
	s_wait_alu 0xfffd
	s_delay_alu instid0(VALU_DEP_2) | instskip(SKIP_2) | instid1(VALU_DEP_3)
	v_dual_cndmask_b32 v6, v14, v6 :: v_dual_and_b32 v13, 7, v11
	v_cmp_ne_u32_e32 vcc_lo, 0, v4
	v_lshrrev_b32_e32 v11, 2, v11
	v_cmp_eq_u32_e64 s0, 3, v13
	s_delay_alu instid0(VALU_DEP_4)
	v_and_b32_e32 v14, 7, v6
	s_wait_alu 0xfffd
	v_cndmask_b32_e64 v4, 0, 1, vcc_lo
	v_cmp_ne_u32_e32 vcc_lo, 0, v8
	v_lshrrev_b32_e32 v6, 2, v6
	v_cmp_lt_i32_e64 s1, 5, v14
	v_cmp_eq_u32_e64 s2, 3, v14
	s_wait_alu 0xfffd
	v_cndmask_b32_e64 v8, 0, 1, vcc_lo
	v_cmp_lt_i32_e32 vcc_lo, 5, v13
	v_lshl_or_b32 v4, v4, 9, 0x7c00
	s_delay_alu instid0(VALU_DEP_3)
	v_lshl_or_b32 v8, v8, 9, 0x7c00
	s_or_b32 vcc_lo, s0, vcc_lo
	s_wait_alu 0xfffe
	v_add_co_ci_u32_e32 v11, vcc_lo, 0, v11, vcc_lo
	s_or_b32 vcc_lo, s2, s1
	s_wait_alu 0xfffe
	v_add_co_ci_u32_e32 v6, vcc_lo, 0, v6, vcc_lo
	v_cmp_gt_i32_e32 vcc_lo, 31, v10
	s_wait_alu 0xfffd
	v_cndmask_b32_e32 v11, 0x7c00, v11, vcc_lo
	v_cmp_gt_i32_e32 vcc_lo, 31, v12
	s_wait_alu 0xfffd
	v_cndmask_b32_e32 v6, 0x7c00, v6, vcc_lo
	v_cmp_eq_u32_e32 vcc_lo, 0x40f, v10
	s_wait_alu 0xfffd
	v_cndmask_b32_e32 v4, v11, v4, vcc_lo
	v_cmp_eq_u32_e32 vcc_lo, 0x40f, v12
	s_delay_alu instid0(VALU_DEP_2)
	v_and_or_b32 v4, 0x8000, v7, v4
	s_wait_alu 0xfffd
	v_cndmask_b32_e32 v6, v6, v8, vcc_lo
	v_add_co_u32 v2, vcc_lo, v2, s4
	s_wait_alu 0xfffd
	v_add_co_ci_u32_e32 v3, vcc_lo, s5, v3, vcc_lo
	s_delay_alu instid0(VALU_DEP_3) | instskip(SKIP_1) | instid1(VALU_DEP_1)
	v_and_or_b32 v6, 0x8000, v9, v6
	v_and_b32_e32 v4, 0xffff, v4
	v_lshl_or_b32 v4, v6, 16, v4
	v_lshrrev_b32_e32 v6, 16, v5
	global_store_b32 v[2:3], v4, off
	global_load_b32 v4, v37, s[8:9] offset:792
	s_wait_loadcnt 0x0
	v_lshrrev_b32_e32 v7, 16, v4
	s_delay_alu instid0(VALU_DEP_1) | instskip(SKIP_1) | instid1(VALU_DEP_2)
	v_mul_f16_e32 v8, v6, v7
	v_mul_f16_e32 v7, v5, v7
	v_fmac_f16_e32 v8, v5, v4
	s_delay_alu instid0(VALU_DEP_2) | instskip(NEXT) | instid1(VALU_DEP_2)
	v_fma_f16 v4, v4, v6, -v7
	v_cvt_f32_f16_e32 v5, v8
	s_delay_alu instid0(VALU_DEP_2) | instskip(NEXT) | instid1(VALU_DEP_2)
	v_cvt_f32_f16_e32 v6, v4
	v_cvt_f64_f32_e32 v[4:5], v5
	s_delay_alu instid0(VALU_DEP_2) | instskip(NEXT) | instid1(VALU_DEP_2)
	v_cvt_f64_f32_e32 v[6:7], v6
	v_mul_f64_e32 v[4:5], s[10:11], v[4:5]
	s_delay_alu instid0(VALU_DEP_2) | instskip(NEXT) | instid1(VALU_DEP_2)
	v_mul_f64_e32 v[6:7], s[10:11], v[6:7]
	v_and_or_b32 v4, 0x1ff, v5, v4
	s_delay_alu instid0(VALU_DEP_2)
	v_and_or_b32 v6, 0x1ff, v7, v6
	v_lshrrev_b32_e32 v8, 8, v5
	v_bfe_u32 v9, v5, 20, 11
	v_lshrrev_b32_e32 v10, 8, v7
	v_cmp_ne_u32_e32 vcc_lo, 0, v4
	v_bfe_u32 v11, v7, 20, 11
	v_lshrrev_b32_e32 v5, 16, v5
	v_sub_nc_u32_e32 v12, 0x3f1, v9
	v_add_nc_u32_e32 v9, 0xfffffc10, v9
	s_wait_alu 0xfffd
	v_cndmask_b32_e64 v4, 0, 1, vcc_lo
	v_cmp_ne_u32_e32 vcc_lo, 0, v6
	v_lshrrev_b32_e32 v7, 16, v7
	s_delay_alu instid0(VALU_DEP_3) | instskip(SKIP_4) | instid1(VALU_DEP_3)
	v_and_or_b32 v4, 0xffe, v8, v4
	s_wait_alu 0xfffd
	v_cndmask_b32_e64 v6, 0, 1, vcc_lo
	v_sub_nc_u32_e32 v8, 0x3f1, v11
	v_add_nc_u32_e32 v11, 0xfffffc10, v11
	v_and_or_b32 v6, 0xffe, v10, v6
	v_med3_i32 v10, v12, 0, 13
	v_or_b32_e32 v12, 0x1000, v4
	v_med3_i32 v8, v8, 0, 13
	s_delay_alu instid0(VALU_DEP_4) | instskip(NEXT) | instid1(VALU_DEP_3)
	v_or_b32_e32 v13, 0x1000, v6
	v_lshrrev_b32_e32 v14, v10, v12
	s_delay_alu instid0(VALU_DEP_2) | instskip(NEXT) | instid1(VALU_DEP_2)
	v_lshrrev_b32_e32 v15, v8, v13
	v_lshlrev_b32_e32 v10, v10, v14
	s_delay_alu instid0(VALU_DEP_2) | instskip(NEXT) | instid1(VALU_DEP_2)
	v_lshlrev_b32_e32 v8, v8, v15
	v_cmp_ne_u32_e32 vcc_lo, v10, v12
	v_lshl_or_b32 v12, v9, 12, v4
	s_wait_alu 0xfffd
	v_cndmask_b32_e64 v10, 0, 1, vcc_lo
	v_cmp_ne_u32_e32 vcc_lo, v8, v13
	v_lshl_or_b32 v13, v11, 12, v6
	s_delay_alu instid0(VALU_DEP_3) | instskip(SKIP_3) | instid1(VALU_DEP_2)
	v_or_b32_e32 v10, v14, v10
	s_wait_alu 0xfffd
	v_cndmask_b32_e64 v8, 0, 1, vcc_lo
	v_cmp_gt_i32_e32 vcc_lo, 1, v9
	v_or_b32_e32 v8, v15, v8
	s_wait_alu 0xfffd
	v_cndmask_b32_e32 v10, v12, v10, vcc_lo
	v_cmp_gt_i32_e32 vcc_lo, 1, v11
	s_delay_alu instid0(VALU_DEP_2)
	v_and_b32_e32 v12, 7, v10
	s_wait_alu 0xfffd
	v_cndmask_b32_e32 v8, v13, v8, vcc_lo
	v_cmp_ne_u32_e32 vcc_lo, 0, v4
	v_lshrrev_b32_e32 v10, 2, v10
	v_cmp_eq_u32_e64 s0, 3, v12
	s_delay_alu instid0(VALU_DEP_4)
	v_and_b32_e32 v13, 7, v8
	s_wait_alu 0xfffd
	v_cndmask_b32_e64 v4, 0, 1, vcc_lo
	v_cmp_ne_u32_e32 vcc_lo, 0, v6
	v_lshrrev_b32_e32 v8, 2, v8
	v_cmp_lt_i32_e64 s1, 5, v13
	v_cmp_eq_u32_e64 s2, 3, v13
	s_wait_alu 0xfffd
	v_cndmask_b32_e64 v6, 0, 1, vcc_lo
	v_cmp_lt_i32_e32 vcc_lo, 5, v12
	v_lshl_or_b32 v4, v4, 9, 0x7c00
	s_delay_alu instid0(VALU_DEP_3)
	v_lshl_or_b32 v6, v6, 9, 0x7c00
	s_or_b32 vcc_lo, s0, vcc_lo
	s_wait_alu 0xfffe
	v_add_co_ci_u32_e32 v10, vcc_lo, 0, v10, vcc_lo
	s_or_b32 vcc_lo, s2, s1
	s_wait_alu 0xfffe
	v_add_co_ci_u32_e32 v8, vcc_lo, 0, v8, vcc_lo
	v_cmp_gt_i32_e32 vcc_lo, 31, v9
	s_wait_alu 0xfffd
	v_cndmask_b32_e32 v10, 0x7c00, v10, vcc_lo
	v_cmp_gt_i32_e32 vcc_lo, 31, v11
	s_wait_alu 0xfffd
	v_cndmask_b32_e32 v8, 0x7c00, v8, vcc_lo
	v_cmp_eq_u32_e32 vcc_lo, 0x40f, v9
	s_wait_alu 0xfffd
	v_cndmask_b32_e32 v4, v10, v4, vcc_lo
	v_cmp_eq_u32_e32 vcc_lo, 0x40f, v11
	s_delay_alu instid0(VALU_DEP_2)
	v_and_or_b32 v4, 0x8000, v5, v4
	s_wait_alu 0xfffd
	v_cndmask_b32_e32 v6, v8, v6, vcc_lo
	v_add_co_u32 v2, vcc_lo, v2, s4
	s_wait_alu 0xfffd
	v_add_co_ci_u32_e32 v3, vcc_lo, s5, v3, vcc_lo
	s_delay_alu instid0(VALU_DEP_3) | instskip(SKIP_1) | instid1(VALU_DEP_1)
	v_and_or_b32 v5, 0x8000, v7, v6
	v_and_b32_e32 v4, 0xffff, v4
	v_lshl_or_b32 v4, v5, 16, v4
	global_store_b32 v[2:3], v4, off
	global_load_b32 v6, v37, s[8:9] offset:924
	ds_load_2addr_b32 v[4:5], v1 offset0:103 offset1:136
	s_wait_dscnt 0x0
	v_lshrrev_b32_e32 v1, 16, v4
	s_wait_loadcnt 0x0
	v_lshrrev_b32_e32 v7, 16, v6
	s_delay_alu instid0(VALU_DEP_1) | instskip(SKIP_1) | instid1(VALU_DEP_2)
	v_mul_f16_e32 v8, v1, v7
	v_mul_f16_e32 v7, v4, v7
	v_fmac_f16_e32 v8, v4, v6
	s_delay_alu instid0(VALU_DEP_2) | instskip(NEXT) | instid1(VALU_DEP_2)
	v_fma_f16 v1, v6, v1, -v7
	v_cvt_f32_f16_e32 v4, v8
	s_delay_alu instid0(VALU_DEP_2) | instskip(NEXT) | instid1(VALU_DEP_2)
	v_cvt_f32_f16_e32 v1, v1
	v_cvt_f64_f32_e32 v[6:7], v4
	s_delay_alu instid0(VALU_DEP_2) | instskip(NEXT) | instid1(VALU_DEP_2)
	v_cvt_f64_f32_e32 v[8:9], v1
	v_mul_f64_e32 v[6:7], s[10:11], v[6:7]
	s_delay_alu instid0(VALU_DEP_2) | instskip(NEXT) | instid1(VALU_DEP_2)
	v_mul_f64_e32 v[8:9], s[10:11], v[8:9]
	v_and_or_b32 v1, 0x1ff, v7, v6
	s_delay_alu instid0(VALU_DEP_2)
	v_and_or_b32 v8, 0x1ff, v9, v8
	v_lshrrev_b32_e32 v4, 8, v7
	v_bfe_u32 v6, v7, 20, 11
	v_lshrrev_b32_e32 v10, 8, v9
	v_cmp_ne_u32_e32 vcc_lo, 0, v1
	v_bfe_u32 v11, v9, 20, 11
	v_lshrrev_b32_e32 v7, 16, v7
	v_sub_nc_u32_e32 v12, 0x3f1, v6
	v_add_nc_u32_e32 v6, 0xfffffc10, v6
	s_wait_alu 0xfffd
	v_cndmask_b32_e64 v1, 0, 1, vcc_lo
	v_cmp_ne_u32_e32 vcc_lo, 0, v8
	s_delay_alu instid0(VALU_DEP_2) | instskip(SKIP_4) | instid1(VALU_DEP_3)
	v_and_or_b32 v1, 0xffe, v4, v1
	s_wait_alu 0xfffd
	v_cndmask_b32_e64 v8, 0, 1, vcc_lo
	v_sub_nc_u32_e32 v4, 0x3f1, v11
	v_add_nc_u32_e32 v11, 0xfffffc10, v11
	v_and_or_b32 v8, 0xffe, v10, v8
	v_med3_i32 v10, v12, 0, 13
	v_or_b32_e32 v12, 0x1000, v1
	v_med3_i32 v4, v4, 0, 13
	s_delay_alu instid0(VALU_DEP_4) | instskip(NEXT) | instid1(VALU_DEP_3)
	v_or_b32_e32 v13, 0x1000, v8
	v_lshrrev_b32_e32 v14, v10, v12
	s_delay_alu instid0(VALU_DEP_2) | instskip(NEXT) | instid1(VALU_DEP_2)
	v_lshrrev_b32_e32 v15, v4, v13
	v_lshlrev_b32_e32 v10, v10, v14
	s_delay_alu instid0(VALU_DEP_2) | instskip(NEXT) | instid1(VALU_DEP_2)
	v_lshlrev_b32_e32 v4, v4, v15
	v_cmp_ne_u32_e32 vcc_lo, v10, v12
	v_lshl_or_b32 v12, v6, 12, v1
	s_wait_alu 0xfffd
	v_cndmask_b32_e64 v10, 0, 1, vcc_lo
	v_cmp_ne_u32_e32 vcc_lo, v4, v13
	v_lshl_or_b32 v13, v11, 12, v8
	s_delay_alu instid0(VALU_DEP_3) | instskip(SKIP_3) | instid1(VALU_DEP_2)
	v_or_b32_e32 v10, v14, v10
	s_wait_alu 0xfffd
	v_cndmask_b32_e64 v4, 0, 1, vcc_lo
	v_cmp_gt_i32_e32 vcc_lo, 1, v6
	v_or_b32_e32 v4, v15, v4
	s_wait_alu 0xfffd
	v_cndmask_b32_e32 v10, v12, v10, vcc_lo
	v_cmp_gt_i32_e32 vcc_lo, 1, v11
	s_delay_alu instid0(VALU_DEP_2)
	v_and_b32_e32 v12, 7, v10
	s_wait_alu 0xfffd
	v_cndmask_b32_e32 v4, v13, v4, vcc_lo
	v_cmp_ne_u32_e32 vcc_lo, 0, v1
	v_lshrrev_b32_e32 v10, 2, v10
	v_cmp_eq_u32_e64 s0, 3, v12
	s_delay_alu instid0(VALU_DEP_4)
	v_and_b32_e32 v13, 7, v4
	s_wait_alu 0xfffd
	v_cndmask_b32_e64 v1, 0, 1, vcc_lo
	v_cmp_ne_u32_e32 vcc_lo, 0, v8
	v_lshrrev_b32_e32 v4, 2, v4
	v_cmp_lt_i32_e64 s1, 5, v13
	v_cmp_eq_u32_e64 s2, 3, v13
	s_wait_alu 0xfffd
	v_cndmask_b32_e64 v8, 0, 1, vcc_lo
	v_cmp_lt_i32_e32 vcc_lo, 5, v12
	v_lshl_or_b32 v1, v1, 9, 0x7c00
	s_delay_alu instid0(VALU_DEP_3)
	v_lshl_or_b32 v8, v8, 9, 0x7c00
	s_or_b32 vcc_lo, s0, vcc_lo
	s_wait_alu 0xfffe
	v_add_co_ci_u32_e32 v10, vcc_lo, 0, v10, vcc_lo
	s_or_b32 vcc_lo, s2, s1
	s_wait_alu 0xfffe
	v_add_co_ci_u32_e32 v4, vcc_lo, 0, v4, vcc_lo
	v_cmp_gt_i32_e32 vcc_lo, 31, v6
	s_wait_alu 0xfffd
	v_cndmask_b32_e32 v10, 0x7c00, v10, vcc_lo
	v_cmp_gt_i32_e32 vcc_lo, 31, v11
	s_wait_alu 0xfffd
	v_cndmask_b32_e32 v4, 0x7c00, v4, vcc_lo
	v_cmp_eq_u32_e32 vcc_lo, 0x40f, v6
	v_lshrrev_b32_e32 v6, 16, v9
	s_wait_alu 0xfffd
	v_cndmask_b32_e32 v1, v10, v1, vcc_lo
	v_cmp_eq_u32_e32 vcc_lo, 0x40f, v11
	s_delay_alu instid0(VALU_DEP_2) | instskip(SKIP_2) | instid1(VALU_DEP_1)
	v_and_or_b32 v1, 0x8000, v7, v1
	s_wait_alu 0xfffd
	v_cndmask_b32_e32 v4, v4, v8, vcc_lo
	v_and_or_b32 v4, 0x8000, v6, v4
	s_delay_alu instid0(VALU_DEP_3) | instskip(SKIP_3) | instid1(VALU_DEP_3)
	v_and_b32_e32 v6, 0xffff, v1
	v_add_co_u32 v1, vcc_lo, v2, s4
	s_wait_alu 0xfffd
	v_add_co_ci_u32_e32 v2, vcc_lo, s5, v3, vcc_lo
	v_lshl_or_b32 v3, v4, 16, v6
	v_lshrrev_b32_e32 v4, 16, v5
	global_store_b32 v[1:2], v3, off
	global_load_b32 v3, v37, s[8:9] offset:1056
	s_wait_loadcnt 0x0
	v_lshrrev_b32_e32 v6, 16, v3
	s_delay_alu instid0(VALU_DEP_1) | instskip(SKIP_1) | instid1(VALU_DEP_2)
	v_mul_f16_e32 v7, v4, v6
	v_mul_f16_e32 v6, v5, v6
	v_fmac_f16_e32 v7, v5, v3
	s_delay_alu instid0(VALU_DEP_2) | instskip(NEXT) | instid1(VALU_DEP_2)
	v_fma_f16 v3, v3, v4, -v6
	v_cvt_f32_f16_e32 v4, v7
	s_delay_alu instid0(VALU_DEP_2) | instskip(NEXT) | instid1(VALU_DEP_2)
	v_cvt_f32_f16_e32 v5, v3
	v_cvt_f64_f32_e32 v[3:4], v4
	s_delay_alu instid0(VALU_DEP_2) | instskip(NEXT) | instid1(VALU_DEP_2)
	v_cvt_f64_f32_e32 v[5:6], v5
	v_mul_f64_e32 v[3:4], s[10:11], v[3:4]
	s_delay_alu instid0(VALU_DEP_2) | instskip(NEXT) | instid1(VALU_DEP_2)
	v_mul_f64_e32 v[5:6], s[10:11], v[5:6]
	v_and_or_b32 v3, 0x1ff, v4, v3
	s_delay_alu instid0(VALU_DEP_2)
	v_and_or_b32 v5, 0x1ff, v6, v5
	v_lshrrev_b32_e32 v7, 8, v4
	v_bfe_u32 v8, v4, 20, 11
	v_lshrrev_b32_e32 v9, 8, v6
	v_cmp_ne_u32_e32 vcc_lo, 0, v3
	v_bfe_u32 v10, v6, 20, 11
	v_lshrrev_b32_e32 v4, 16, v4
	v_sub_nc_u32_e32 v11, 0x3f1, v8
	v_add_nc_u32_e32 v8, 0xfffffc10, v8
	s_wait_alu 0xfffd
	v_cndmask_b32_e64 v3, 0, 1, vcc_lo
	v_cmp_ne_u32_e32 vcc_lo, 0, v5
	v_lshrrev_b32_e32 v6, 16, v6
	s_delay_alu instid0(VALU_DEP_3) | instskip(SKIP_4) | instid1(VALU_DEP_3)
	v_and_or_b32 v3, 0xffe, v7, v3
	s_wait_alu 0xfffd
	v_cndmask_b32_e64 v5, 0, 1, vcc_lo
	v_sub_nc_u32_e32 v7, 0x3f1, v10
	v_add_nc_u32_e32 v10, 0xfffffc10, v10
	v_and_or_b32 v5, 0xffe, v9, v5
	v_med3_i32 v9, v11, 0, 13
	v_or_b32_e32 v11, 0x1000, v3
	v_med3_i32 v7, v7, 0, 13
	s_delay_alu instid0(VALU_DEP_4) | instskip(NEXT) | instid1(VALU_DEP_3)
	v_or_b32_e32 v12, 0x1000, v5
	v_lshrrev_b32_e32 v13, v9, v11
	s_delay_alu instid0(VALU_DEP_2) | instskip(NEXT) | instid1(VALU_DEP_2)
	v_lshrrev_b32_e32 v14, v7, v12
	v_lshlrev_b32_e32 v9, v9, v13
	s_delay_alu instid0(VALU_DEP_2) | instskip(NEXT) | instid1(VALU_DEP_2)
	v_lshlrev_b32_e32 v7, v7, v14
	v_cmp_ne_u32_e32 vcc_lo, v9, v11
	v_lshl_or_b32 v11, v8, 12, v3
	s_wait_alu 0xfffd
	v_cndmask_b32_e64 v9, 0, 1, vcc_lo
	v_cmp_ne_u32_e32 vcc_lo, v7, v12
	v_lshl_or_b32 v12, v10, 12, v5
	s_delay_alu instid0(VALU_DEP_3) | instskip(SKIP_3) | instid1(VALU_DEP_2)
	v_or_b32_e32 v9, v13, v9
	s_wait_alu 0xfffd
	v_cndmask_b32_e64 v7, 0, 1, vcc_lo
	v_cmp_gt_i32_e32 vcc_lo, 1, v8
	v_or_b32_e32 v7, v14, v7
	s_wait_alu 0xfffd
	v_cndmask_b32_e32 v9, v11, v9, vcc_lo
	v_cmp_gt_i32_e32 vcc_lo, 1, v10
	s_delay_alu instid0(VALU_DEP_2)
	v_and_b32_e32 v11, 7, v9
	s_wait_alu 0xfffd
	v_cndmask_b32_e32 v7, v12, v7, vcc_lo
	v_cmp_ne_u32_e32 vcc_lo, 0, v3
	v_lshrrev_b32_e32 v9, 2, v9
	v_cmp_eq_u32_e64 s0, 3, v11
	s_delay_alu instid0(VALU_DEP_4)
	v_and_b32_e32 v12, 7, v7
	s_wait_alu 0xfffd
	v_cndmask_b32_e64 v3, 0, 1, vcc_lo
	v_cmp_ne_u32_e32 vcc_lo, 0, v5
	v_lshrrev_b32_e32 v7, 2, v7
	v_cmp_lt_i32_e64 s1, 5, v12
	v_cmp_eq_u32_e64 s2, 3, v12
	s_wait_alu 0xfffd
	v_cndmask_b32_e64 v5, 0, 1, vcc_lo
	v_cmp_lt_i32_e32 vcc_lo, 5, v11
	v_lshl_or_b32 v3, v3, 9, 0x7c00
	s_delay_alu instid0(VALU_DEP_3)
	v_lshl_or_b32 v5, v5, 9, 0x7c00
	s_or_b32 vcc_lo, s0, vcc_lo
	s_wait_alu 0xfffe
	v_add_co_ci_u32_e32 v9, vcc_lo, 0, v9, vcc_lo
	s_or_b32 vcc_lo, s2, s1
	s_wait_alu 0xfffe
	v_add_co_ci_u32_e32 v7, vcc_lo, 0, v7, vcc_lo
	v_cmp_gt_i32_e32 vcc_lo, 31, v8
	s_wait_alu 0xfffd
	v_cndmask_b32_e32 v9, 0x7c00, v9, vcc_lo
	v_cmp_gt_i32_e32 vcc_lo, 31, v10
	s_wait_alu 0xfffd
	v_cndmask_b32_e32 v7, 0x7c00, v7, vcc_lo
	v_cmp_eq_u32_e32 vcc_lo, 0x40f, v8
	s_wait_alu 0xfffd
	v_cndmask_b32_e32 v3, v9, v3, vcc_lo
	v_cmp_eq_u32_e32 vcc_lo, 0x40f, v10
	s_delay_alu instid0(VALU_DEP_2)
	v_and_or_b32 v3, 0x8000, v4, v3
	s_wait_alu 0xfffd
	v_cndmask_b32_e32 v5, v7, v5, vcc_lo
	v_add_co_u32 v1, vcc_lo, v1, s4
	s_wait_alu 0xfffd
	v_add_co_ci_u32_e32 v2, vcc_lo, s5, v2, vcc_lo
	s_delay_alu instid0(VALU_DEP_3) | instskip(SKIP_1) | instid1(VALU_DEP_1)
	v_and_or_b32 v4, 0x8000, v6, v5
	v_and_b32_e32 v3, 0xffff, v3
	v_lshl_or_b32 v3, v4, 16, v3
	global_store_b32 v[1:2], v3, off
	global_load_b32 v5, v37, s[8:9] offset:1188
	ds_load_2addr_b32 v[3:4], v0 offset0:41 offset1:74
	s_wait_dscnt 0x0
	v_lshrrev_b32_e32 v6, 16, v3
	s_wait_loadcnt 0x0
	v_lshrrev_b32_e32 v7, 16, v5
	s_delay_alu instid0(VALU_DEP_1) | instskip(SKIP_1) | instid1(VALU_DEP_2)
	v_mul_f16_e32 v8, v6, v7
	v_mul_f16_e32 v7, v3, v7
	v_fmac_f16_e32 v8, v3, v5
	s_delay_alu instid0(VALU_DEP_2) | instskip(NEXT) | instid1(VALU_DEP_2)
	v_fma_f16 v3, v5, v6, -v7
	v_cvt_f32_f16_e32 v5, v8
	s_delay_alu instid0(VALU_DEP_2) | instskip(NEXT) | instid1(VALU_DEP_2)
	v_cvt_f32_f16_e32 v3, v3
	v_cvt_f64_f32_e32 v[5:6], v5
	s_delay_alu instid0(VALU_DEP_2) | instskip(NEXT) | instid1(VALU_DEP_2)
	v_cvt_f64_f32_e32 v[7:8], v3
	v_mul_f64_e32 v[5:6], s[10:11], v[5:6]
	s_delay_alu instid0(VALU_DEP_2) | instskip(NEXT) | instid1(VALU_DEP_2)
	v_mul_f64_e32 v[7:8], s[10:11], v[7:8]
	v_and_or_b32 v3, 0x1ff, v6, v5
	s_delay_alu instid0(VALU_DEP_2)
	v_and_or_b32 v7, 0x1ff, v8, v7
	v_lshrrev_b32_e32 v5, 8, v6
	v_bfe_u32 v9, v6, 20, 11
	v_lshrrev_b32_e32 v10, 8, v8
	v_cmp_ne_u32_e32 vcc_lo, 0, v3
	v_bfe_u32 v11, v8, 20, 11
	v_lshrrev_b32_e32 v6, 16, v6
	v_sub_nc_u32_e32 v12, 0x3f1, v9
	v_add_nc_u32_e32 v9, 0xfffffc10, v9
	s_wait_alu 0xfffd
	v_cndmask_b32_e64 v3, 0, 1, vcc_lo
	v_cmp_ne_u32_e32 vcc_lo, 0, v7
	v_lshrrev_b32_e32 v8, 16, v8
	s_delay_alu instid0(VALU_DEP_3) | instskip(SKIP_4) | instid1(VALU_DEP_3)
	v_and_or_b32 v3, 0xffe, v5, v3
	s_wait_alu 0xfffd
	v_cndmask_b32_e64 v7, 0, 1, vcc_lo
	v_sub_nc_u32_e32 v5, 0x3f1, v11
	v_add_nc_u32_e32 v11, 0xfffffc10, v11
	v_and_or_b32 v7, 0xffe, v10, v7
	v_med3_i32 v10, v12, 0, 13
	v_or_b32_e32 v12, 0x1000, v3
	v_med3_i32 v5, v5, 0, 13
	s_delay_alu instid0(VALU_DEP_4) | instskip(NEXT) | instid1(VALU_DEP_3)
	v_or_b32_e32 v13, 0x1000, v7
	v_lshrrev_b32_e32 v14, v10, v12
	s_delay_alu instid0(VALU_DEP_2) | instskip(NEXT) | instid1(VALU_DEP_2)
	v_lshrrev_b32_e32 v15, v5, v13
	v_lshlrev_b32_e32 v10, v10, v14
	s_delay_alu instid0(VALU_DEP_2) | instskip(NEXT) | instid1(VALU_DEP_2)
	v_lshlrev_b32_e32 v5, v5, v15
	v_cmp_ne_u32_e32 vcc_lo, v10, v12
	v_lshl_or_b32 v12, v9, 12, v3
	s_wait_alu 0xfffd
	v_cndmask_b32_e64 v10, 0, 1, vcc_lo
	v_cmp_ne_u32_e32 vcc_lo, v5, v13
	v_lshl_or_b32 v13, v11, 12, v7
	s_delay_alu instid0(VALU_DEP_3) | instskip(SKIP_3) | instid1(VALU_DEP_2)
	v_or_b32_e32 v10, v14, v10
	s_wait_alu 0xfffd
	v_cndmask_b32_e64 v5, 0, 1, vcc_lo
	v_cmp_gt_i32_e32 vcc_lo, 1, v9
	v_or_b32_e32 v5, v15, v5
	s_wait_alu 0xfffd
	v_cndmask_b32_e32 v10, v12, v10, vcc_lo
	v_cmp_gt_i32_e32 vcc_lo, 1, v11
	s_wait_alu 0xfffd
	s_delay_alu instid0(VALU_DEP_2) | instskip(SKIP_2) | instid1(VALU_DEP_3)
	v_dual_cndmask_b32 v5, v13, v5 :: v_dual_and_b32 v12, 7, v10
	v_cmp_ne_u32_e32 vcc_lo, 0, v3
	v_lshrrev_b32_e32 v10, 2, v10
	v_cmp_eq_u32_e64 s0, 3, v12
	s_delay_alu instid0(VALU_DEP_4)
	v_and_b32_e32 v13, 7, v5
	s_wait_alu 0xfffd
	v_cndmask_b32_e64 v3, 0, 1, vcc_lo
	v_cmp_ne_u32_e32 vcc_lo, 0, v7
	v_lshrrev_b32_e32 v5, 2, v5
	v_cmp_lt_i32_e64 s1, 5, v13
	v_cmp_eq_u32_e64 s2, 3, v13
	s_wait_alu 0xfffd
	v_cndmask_b32_e64 v7, 0, 1, vcc_lo
	v_cmp_lt_i32_e32 vcc_lo, 5, v12
	v_lshl_or_b32 v3, v3, 9, 0x7c00
	s_delay_alu instid0(VALU_DEP_3)
	v_lshl_or_b32 v7, v7, 9, 0x7c00
	s_or_b32 vcc_lo, s0, vcc_lo
	s_wait_alu 0xfffe
	v_add_co_ci_u32_e32 v10, vcc_lo, 0, v10, vcc_lo
	s_or_b32 vcc_lo, s2, s1
	s_wait_alu 0xfffe
	v_add_co_ci_u32_e32 v5, vcc_lo, 0, v5, vcc_lo
	v_cmp_gt_i32_e32 vcc_lo, 31, v9
	s_wait_alu 0xfffd
	v_cndmask_b32_e32 v10, 0x7c00, v10, vcc_lo
	v_cmp_gt_i32_e32 vcc_lo, 31, v11
	s_wait_alu 0xfffd
	v_cndmask_b32_e32 v5, 0x7c00, v5, vcc_lo
	v_cmp_eq_u32_e32 vcc_lo, 0x40f, v9
	s_wait_alu 0xfffd
	v_cndmask_b32_e32 v3, v10, v3, vcc_lo
	v_cmp_eq_u32_e32 vcc_lo, 0x40f, v11
	s_delay_alu instid0(VALU_DEP_2)
	v_and_or_b32 v3, 0x8000, v6, v3
	s_wait_alu 0xfffd
	v_cndmask_b32_e32 v5, v5, v7, vcc_lo
	v_add_co_u32 v1, vcc_lo, v1, s4
	s_wait_alu 0xfffd
	v_add_co_ci_u32_e32 v2, vcc_lo, s5, v2, vcc_lo
	s_delay_alu instid0(VALU_DEP_3) | instskip(SKIP_1) | instid1(VALU_DEP_1)
	v_and_or_b32 v5, 0x8000, v8, v5
	v_and_b32_e32 v3, 0xffff, v3
	v_lshl_or_b32 v3, v5, 16, v3
	v_lshrrev_b32_e32 v5, 16, v4
	global_store_b32 v[1:2], v3, off
	global_load_b32 v3, v37, s[8:9] offset:1320
	s_wait_loadcnt 0x0
	v_lshrrev_b32_e32 v6, 16, v3
	s_delay_alu instid0(VALU_DEP_1) | instskip(SKIP_1) | instid1(VALU_DEP_2)
	v_mul_f16_e32 v7, v5, v6
	v_mul_f16_e32 v6, v4, v6
	v_fmac_f16_e32 v7, v4, v3
	s_delay_alu instid0(VALU_DEP_2) | instskip(NEXT) | instid1(VALU_DEP_2)
	v_fma_f16 v3, v3, v5, -v6
	v_cvt_f32_f16_e32 v4, v7
	s_delay_alu instid0(VALU_DEP_2) | instskip(NEXT) | instid1(VALU_DEP_2)
	v_cvt_f32_f16_e32 v5, v3
	v_cvt_f64_f32_e32 v[3:4], v4
	s_delay_alu instid0(VALU_DEP_2) | instskip(NEXT) | instid1(VALU_DEP_2)
	v_cvt_f64_f32_e32 v[5:6], v5
	v_mul_f64_e32 v[3:4], s[10:11], v[3:4]
	s_delay_alu instid0(VALU_DEP_2) | instskip(NEXT) | instid1(VALU_DEP_2)
	v_mul_f64_e32 v[5:6], s[10:11], v[5:6]
	v_and_or_b32 v3, 0x1ff, v4, v3
	s_delay_alu instid0(VALU_DEP_2)
	v_and_or_b32 v5, 0x1ff, v6, v5
	v_lshrrev_b32_e32 v7, 8, v4
	v_bfe_u32 v8, v4, 20, 11
	v_lshrrev_b32_e32 v9, 8, v6
	v_cmp_ne_u32_e32 vcc_lo, 0, v3
	v_bfe_u32 v10, v6, 20, 11
	v_lshrrev_b32_e32 v4, 16, v4
	v_sub_nc_u32_e32 v11, 0x3f1, v8
	v_add_nc_u32_e32 v8, 0xfffffc10, v8
	s_wait_alu 0xfffd
	v_cndmask_b32_e64 v3, 0, 1, vcc_lo
	v_cmp_ne_u32_e32 vcc_lo, 0, v5
	v_lshrrev_b32_e32 v6, 16, v6
	s_delay_alu instid0(VALU_DEP_3) | instskip(SKIP_4) | instid1(VALU_DEP_3)
	v_and_or_b32 v3, 0xffe, v7, v3
	s_wait_alu 0xfffd
	v_cndmask_b32_e64 v5, 0, 1, vcc_lo
	v_sub_nc_u32_e32 v7, 0x3f1, v10
	v_add_nc_u32_e32 v10, 0xfffffc10, v10
	v_and_or_b32 v5, 0xffe, v9, v5
	v_med3_i32 v9, v11, 0, 13
	v_or_b32_e32 v11, 0x1000, v3
	v_med3_i32 v7, v7, 0, 13
	s_delay_alu instid0(VALU_DEP_4) | instskip(NEXT) | instid1(VALU_DEP_3)
	v_or_b32_e32 v12, 0x1000, v5
	v_lshrrev_b32_e32 v13, v9, v11
	s_delay_alu instid0(VALU_DEP_2) | instskip(NEXT) | instid1(VALU_DEP_2)
	v_lshrrev_b32_e32 v14, v7, v12
	v_lshlrev_b32_e32 v9, v9, v13
	s_delay_alu instid0(VALU_DEP_2) | instskip(NEXT) | instid1(VALU_DEP_2)
	v_lshlrev_b32_e32 v7, v7, v14
	v_cmp_ne_u32_e32 vcc_lo, v9, v11
	v_lshl_or_b32 v11, v8, 12, v3
	s_wait_alu 0xfffd
	v_cndmask_b32_e64 v9, 0, 1, vcc_lo
	v_cmp_ne_u32_e32 vcc_lo, v7, v12
	v_lshl_or_b32 v12, v10, 12, v5
	s_delay_alu instid0(VALU_DEP_3) | instskip(SKIP_3) | instid1(VALU_DEP_2)
	v_or_b32_e32 v9, v13, v9
	s_wait_alu 0xfffd
	v_cndmask_b32_e64 v7, 0, 1, vcc_lo
	v_cmp_gt_i32_e32 vcc_lo, 1, v8
	v_or_b32_e32 v7, v14, v7
	s_wait_alu 0xfffd
	v_cndmask_b32_e32 v9, v11, v9, vcc_lo
	v_cmp_gt_i32_e32 vcc_lo, 1, v10
	s_delay_alu instid0(VALU_DEP_2)
	v_and_b32_e32 v11, 7, v9
	s_wait_alu 0xfffd
	v_cndmask_b32_e32 v7, v12, v7, vcc_lo
	v_cmp_ne_u32_e32 vcc_lo, 0, v3
	v_lshrrev_b32_e32 v9, 2, v9
	v_cmp_eq_u32_e64 s0, 3, v11
	s_delay_alu instid0(VALU_DEP_4)
	v_and_b32_e32 v12, 7, v7
	s_wait_alu 0xfffd
	v_cndmask_b32_e64 v3, 0, 1, vcc_lo
	v_cmp_ne_u32_e32 vcc_lo, 0, v5
	v_lshrrev_b32_e32 v7, 2, v7
	v_cmp_lt_i32_e64 s1, 5, v12
	v_cmp_eq_u32_e64 s2, 3, v12
	s_wait_alu 0xfffd
	v_cndmask_b32_e64 v5, 0, 1, vcc_lo
	v_cmp_lt_i32_e32 vcc_lo, 5, v11
	v_lshl_or_b32 v3, v3, 9, 0x7c00
	s_delay_alu instid0(VALU_DEP_3)
	v_lshl_or_b32 v5, v5, 9, 0x7c00
	s_or_b32 vcc_lo, s0, vcc_lo
	s_wait_alu 0xfffe
	v_add_co_ci_u32_e32 v9, vcc_lo, 0, v9, vcc_lo
	s_or_b32 vcc_lo, s2, s1
	s_wait_alu 0xfffe
	v_add_co_ci_u32_e32 v7, vcc_lo, 0, v7, vcc_lo
	v_cmp_gt_i32_e32 vcc_lo, 31, v8
	s_wait_alu 0xfffd
	v_cndmask_b32_e32 v9, 0x7c00, v9, vcc_lo
	v_cmp_gt_i32_e32 vcc_lo, 31, v10
	s_wait_alu 0xfffd
	v_cndmask_b32_e32 v7, 0x7c00, v7, vcc_lo
	v_cmp_eq_u32_e32 vcc_lo, 0x40f, v8
	s_wait_alu 0xfffd
	v_cndmask_b32_e32 v3, v9, v3, vcc_lo
	v_cmp_eq_u32_e32 vcc_lo, 0x40f, v10
	s_delay_alu instid0(VALU_DEP_2)
	v_and_or_b32 v3, 0x8000, v4, v3
	s_wait_alu 0xfffd
	v_cndmask_b32_e32 v5, v7, v5, vcc_lo
	v_add_co_u32 v1, vcc_lo, v1, s4
	s_wait_alu 0xfffd
	v_add_co_ci_u32_e32 v2, vcc_lo, s5, v2, vcc_lo
	s_delay_alu instid0(VALU_DEP_3) | instskip(SKIP_1) | instid1(VALU_DEP_1)
	v_and_or_b32 v4, 0x8000, v6, v5
	v_and_b32_e32 v3, 0xffff, v3
	v_lshl_or_b32 v3, v4, 16, v3
	global_store_b32 v[1:2], v3, off
	global_load_b32 v5, v37, s[8:9] offset:1452
	ds_load_2addr_b32 v[3:4], v0 offset0:107 offset1:140
	s_wait_dscnt 0x0
	v_lshrrev_b32_e32 v6, 16, v3
	s_wait_loadcnt 0x0
	v_lshrrev_b32_e32 v7, 16, v5
	s_delay_alu instid0(VALU_DEP_1) | instskip(SKIP_1) | instid1(VALU_DEP_2)
	v_mul_f16_e32 v8, v6, v7
	v_mul_f16_e32 v7, v3, v7
	v_fmac_f16_e32 v8, v3, v5
	s_delay_alu instid0(VALU_DEP_2) | instskip(NEXT) | instid1(VALU_DEP_2)
	v_fma_f16 v3, v5, v6, -v7
	v_cvt_f32_f16_e32 v5, v8
	s_delay_alu instid0(VALU_DEP_2) | instskip(NEXT) | instid1(VALU_DEP_2)
	v_cvt_f32_f16_e32 v3, v3
	v_cvt_f64_f32_e32 v[5:6], v5
	s_delay_alu instid0(VALU_DEP_2) | instskip(NEXT) | instid1(VALU_DEP_2)
	v_cvt_f64_f32_e32 v[7:8], v3
	v_mul_f64_e32 v[5:6], s[10:11], v[5:6]
	s_delay_alu instid0(VALU_DEP_2) | instskip(NEXT) | instid1(VALU_DEP_2)
	v_mul_f64_e32 v[7:8], s[10:11], v[7:8]
	v_and_or_b32 v3, 0x1ff, v6, v5
	s_delay_alu instid0(VALU_DEP_2)
	v_and_or_b32 v7, 0x1ff, v8, v7
	v_lshrrev_b32_e32 v5, 8, v6
	v_bfe_u32 v9, v6, 20, 11
	v_lshrrev_b32_e32 v10, 8, v8
	v_cmp_ne_u32_e32 vcc_lo, 0, v3
	v_bfe_u32 v11, v8, 20, 11
	v_lshrrev_b32_e32 v6, 16, v6
	v_sub_nc_u32_e32 v12, 0x3f1, v9
	v_add_nc_u32_e32 v9, 0xfffffc10, v9
	s_wait_alu 0xfffd
	v_cndmask_b32_e64 v3, 0, 1, vcc_lo
	v_cmp_ne_u32_e32 vcc_lo, 0, v7
	v_lshrrev_b32_e32 v8, 16, v8
	s_delay_alu instid0(VALU_DEP_3) | instskip(SKIP_4) | instid1(VALU_DEP_3)
	v_and_or_b32 v3, 0xffe, v5, v3
	s_wait_alu 0xfffd
	v_cndmask_b32_e64 v7, 0, 1, vcc_lo
	v_sub_nc_u32_e32 v5, 0x3f1, v11
	v_add_nc_u32_e32 v11, 0xfffffc10, v11
	v_and_or_b32 v7, 0xffe, v10, v7
	v_med3_i32 v10, v12, 0, 13
	v_or_b32_e32 v12, 0x1000, v3
	v_med3_i32 v5, v5, 0, 13
	s_delay_alu instid0(VALU_DEP_4) | instskip(NEXT) | instid1(VALU_DEP_3)
	v_or_b32_e32 v13, 0x1000, v7
	v_lshrrev_b32_e32 v14, v10, v12
	s_delay_alu instid0(VALU_DEP_2) | instskip(NEXT) | instid1(VALU_DEP_2)
	v_lshrrev_b32_e32 v15, v5, v13
	v_lshlrev_b32_e32 v10, v10, v14
	s_delay_alu instid0(VALU_DEP_2) | instskip(NEXT) | instid1(VALU_DEP_2)
	v_lshlrev_b32_e32 v5, v5, v15
	v_cmp_ne_u32_e32 vcc_lo, v10, v12
	v_lshl_or_b32 v12, v9, 12, v3
	s_wait_alu 0xfffd
	v_cndmask_b32_e64 v10, 0, 1, vcc_lo
	v_cmp_ne_u32_e32 vcc_lo, v5, v13
	v_lshl_or_b32 v13, v11, 12, v7
	s_delay_alu instid0(VALU_DEP_3) | instskip(SKIP_3) | instid1(VALU_DEP_2)
	v_or_b32_e32 v10, v14, v10
	s_wait_alu 0xfffd
	v_cndmask_b32_e64 v5, 0, 1, vcc_lo
	v_cmp_gt_i32_e32 vcc_lo, 1, v9
	v_or_b32_e32 v5, v15, v5
	s_wait_alu 0xfffd
	v_cndmask_b32_e32 v10, v12, v10, vcc_lo
	v_cmp_gt_i32_e32 vcc_lo, 1, v11
	s_wait_alu 0xfffd
	s_delay_alu instid0(VALU_DEP_2) | instskip(SKIP_2) | instid1(VALU_DEP_3)
	v_dual_cndmask_b32 v5, v13, v5 :: v_dual_and_b32 v12, 7, v10
	v_cmp_ne_u32_e32 vcc_lo, 0, v3
	v_lshrrev_b32_e32 v10, 2, v10
	v_cmp_eq_u32_e64 s0, 3, v12
	s_delay_alu instid0(VALU_DEP_4)
	v_and_b32_e32 v13, 7, v5
	s_wait_alu 0xfffd
	v_cndmask_b32_e64 v3, 0, 1, vcc_lo
	v_cmp_ne_u32_e32 vcc_lo, 0, v7
	v_lshrrev_b32_e32 v5, 2, v5
	v_cmp_lt_i32_e64 s1, 5, v13
	v_cmp_eq_u32_e64 s2, 3, v13
	s_wait_alu 0xfffd
	v_cndmask_b32_e64 v7, 0, 1, vcc_lo
	v_cmp_lt_i32_e32 vcc_lo, 5, v12
	v_lshl_or_b32 v3, v3, 9, 0x7c00
	s_delay_alu instid0(VALU_DEP_3)
	v_lshl_or_b32 v7, v7, 9, 0x7c00
	s_or_b32 vcc_lo, s0, vcc_lo
	s_wait_alu 0xfffe
	v_add_co_ci_u32_e32 v10, vcc_lo, 0, v10, vcc_lo
	s_or_b32 vcc_lo, s2, s1
	s_wait_alu 0xfffe
	v_add_co_ci_u32_e32 v5, vcc_lo, 0, v5, vcc_lo
	v_cmp_gt_i32_e32 vcc_lo, 31, v9
	s_wait_alu 0xfffd
	v_cndmask_b32_e32 v10, 0x7c00, v10, vcc_lo
	v_cmp_gt_i32_e32 vcc_lo, 31, v11
	s_wait_alu 0xfffd
	v_cndmask_b32_e32 v5, 0x7c00, v5, vcc_lo
	v_cmp_eq_u32_e32 vcc_lo, 0x40f, v9
	s_wait_alu 0xfffd
	v_cndmask_b32_e32 v3, v10, v3, vcc_lo
	v_cmp_eq_u32_e32 vcc_lo, 0x40f, v11
	s_delay_alu instid0(VALU_DEP_2)
	v_and_or_b32 v3, 0x8000, v6, v3
	s_wait_alu 0xfffd
	v_cndmask_b32_e32 v5, v5, v7, vcc_lo
	v_add_co_u32 v1, vcc_lo, v1, s4
	s_wait_alu 0xfffd
	v_add_co_ci_u32_e32 v2, vcc_lo, s5, v2, vcc_lo
	s_delay_alu instid0(VALU_DEP_3) | instskip(SKIP_1) | instid1(VALU_DEP_1)
	v_and_or_b32 v5, 0x8000, v8, v5
	v_and_b32_e32 v3, 0xffff, v3
	v_lshl_or_b32 v3, v5, 16, v3
	v_lshrrev_b32_e32 v5, 16, v4
	global_store_b32 v[1:2], v3, off
	global_load_b32 v3, v37, s[8:9] offset:1584
	s_wait_loadcnt 0x0
	v_lshrrev_b32_e32 v6, 16, v3
	s_delay_alu instid0(VALU_DEP_1) | instskip(SKIP_1) | instid1(VALU_DEP_2)
	v_mul_f16_e32 v7, v5, v6
	v_mul_f16_e32 v6, v4, v6
	v_fmac_f16_e32 v7, v4, v3
	s_delay_alu instid0(VALU_DEP_2) | instskip(NEXT) | instid1(VALU_DEP_2)
	v_fma_f16 v3, v3, v5, -v6
	v_cvt_f32_f16_e32 v4, v7
	s_delay_alu instid0(VALU_DEP_2) | instskip(NEXT) | instid1(VALU_DEP_2)
	v_cvt_f32_f16_e32 v5, v3
	v_cvt_f64_f32_e32 v[3:4], v4
	s_delay_alu instid0(VALU_DEP_2) | instskip(NEXT) | instid1(VALU_DEP_2)
	v_cvt_f64_f32_e32 v[5:6], v5
	v_mul_f64_e32 v[3:4], s[10:11], v[3:4]
	s_delay_alu instid0(VALU_DEP_2) | instskip(NEXT) | instid1(VALU_DEP_2)
	v_mul_f64_e32 v[5:6], s[10:11], v[5:6]
	v_and_or_b32 v3, 0x1ff, v4, v3
	s_delay_alu instid0(VALU_DEP_2)
	v_and_or_b32 v5, 0x1ff, v6, v5
	v_lshrrev_b32_e32 v7, 8, v4
	v_bfe_u32 v8, v4, 20, 11
	v_lshrrev_b32_e32 v9, 8, v6
	v_cmp_ne_u32_e32 vcc_lo, 0, v3
	v_bfe_u32 v10, v6, 20, 11
	v_lshrrev_b32_e32 v4, 16, v4
	v_sub_nc_u32_e32 v11, 0x3f1, v8
	v_add_nc_u32_e32 v8, 0xfffffc10, v8
	s_wait_alu 0xfffd
	v_cndmask_b32_e64 v3, 0, 1, vcc_lo
	v_cmp_ne_u32_e32 vcc_lo, 0, v5
	v_lshrrev_b32_e32 v6, 16, v6
	s_delay_alu instid0(VALU_DEP_3) | instskip(SKIP_4) | instid1(VALU_DEP_3)
	v_and_or_b32 v3, 0xffe, v7, v3
	s_wait_alu 0xfffd
	v_cndmask_b32_e64 v5, 0, 1, vcc_lo
	v_sub_nc_u32_e32 v7, 0x3f1, v10
	v_add_nc_u32_e32 v10, 0xfffffc10, v10
	v_and_or_b32 v5, 0xffe, v9, v5
	v_med3_i32 v9, v11, 0, 13
	v_or_b32_e32 v11, 0x1000, v3
	v_med3_i32 v7, v7, 0, 13
	s_delay_alu instid0(VALU_DEP_4) | instskip(NEXT) | instid1(VALU_DEP_3)
	v_or_b32_e32 v12, 0x1000, v5
	v_lshrrev_b32_e32 v13, v9, v11
	s_delay_alu instid0(VALU_DEP_2) | instskip(NEXT) | instid1(VALU_DEP_2)
	v_lshrrev_b32_e32 v14, v7, v12
	v_lshlrev_b32_e32 v9, v9, v13
	s_delay_alu instid0(VALU_DEP_2) | instskip(NEXT) | instid1(VALU_DEP_2)
	v_lshlrev_b32_e32 v7, v7, v14
	v_cmp_ne_u32_e32 vcc_lo, v9, v11
	v_lshl_or_b32 v11, v8, 12, v3
	s_wait_alu 0xfffd
	v_cndmask_b32_e64 v9, 0, 1, vcc_lo
	v_cmp_ne_u32_e32 vcc_lo, v7, v12
	v_lshl_or_b32 v12, v10, 12, v5
	s_delay_alu instid0(VALU_DEP_3) | instskip(SKIP_3) | instid1(VALU_DEP_2)
	v_or_b32_e32 v9, v13, v9
	s_wait_alu 0xfffd
	v_cndmask_b32_e64 v7, 0, 1, vcc_lo
	v_cmp_gt_i32_e32 vcc_lo, 1, v8
	v_or_b32_e32 v7, v14, v7
	s_wait_alu 0xfffd
	v_cndmask_b32_e32 v9, v11, v9, vcc_lo
	v_cmp_gt_i32_e32 vcc_lo, 1, v10
	s_delay_alu instid0(VALU_DEP_2)
	v_and_b32_e32 v11, 7, v9
	s_wait_alu 0xfffd
	v_cndmask_b32_e32 v7, v12, v7, vcc_lo
	v_cmp_ne_u32_e32 vcc_lo, 0, v3
	v_lshrrev_b32_e32 v9, 2, v9
	v_cmp_eq_u32_e64 s0, 3, v11
	s_delay_alu instid0(VALU_DEP_4)
	v_and_b32_e32 v12, 7, v7
	s_wait_alu 0xfffd
	v_cndmask_b32_e64 v3, 0, 1, vcc_lo
	v_cmp_ne_u32_e32 vcc_lo, 0, v5
	v_lshrrev_b32_e32 v7, 2, v7
	v_cmp_lt_i32_e64 s1, 5, v12
	v_cmp_eq_u32_e64 s2, 3, v12
	s_wait_alu 0xfffd
	v_cndmask_b32_e64 v5, 0, 1, vcc_lo
	v_cmp_lt_i32_e32 vcc_lo, 5, v11
	v_lshl_or_b32 v3, v3, 9, 0x7c00
	s_delay_alu instid0(VALU_DEP_3)
	v_lshl_or_b32 v5, v5, 9, 0x7c00
	s_or_b32 vcc_lo, s0, vcc_lo
	s_wait_alu 0xfffe
	v_add_co_ci_u32_e32 v9, vcc_lo, 0, v9, vcc_lo
	s_or_b32 vcc_lo, s2, s1
	s_wait_alu 0xfffe
	v_add_co_ci_u32_e32 v7, vcc_lo, 0, v7, vcc_lo
	v_cmp_gt_i32_e32 vcc_lo, 31, v8
	s_wait_alu 0xfffd
	v_cndmask_b32_e32 v9, 0x7c00, v9, vcc_lo
	v_cmp_gt_i32_e32 vcc_lo, 31, v10
	s_wait_alu 0xfffd
	v_cndmask_b32_e32 v7, 0x7c00, v7, vcc_lo
	v_cmp_eq_u32_e32 vcc_lo, 0x40f, v8
	s_wait_alu 0xfffd
	v_cndmask_b32_e32 v3, v9, v3, vcc_lo
	v_cmp_eq_u32_e32 vcc_lo, 0x40f, v10
	s_delay_alu instid0(VALU_DEP_2)
	v_and_or_b32 v3, 0x8000, v4, v3
	s_wait_alu 0xfffd
	v_cndmask_b32_e32 v5, v7, v5, vcc_lo
	v_add_co_u32 v1, vcc_lo, v1, s4
	s_wait_alu 0xfffd
	v_add_co_ci_u32_e32 v2, vcc_lo, s5, v2, vcc_lo
	s_delay_alu instid0(VALU_DEP_3) | instskip(SKIP_1) | instid1(VALU_DEP_1)
	v_and_or_b32 v4, 0x8000, v6, v5
	v_and_b32_e32 v3, 0xffff, v3
	v_lshl_or_b32 v3, v4, 16, v3
	global_store_b32 v[1:2], v3, off
	global_load_b32 v5, v37, s[8:9] offset:1716
	ds_load_2addr_b32 v[3:4], v0 offset0:173 offset1:206
	s_wait_dscnt 0x0
	v_lshrrev_b32_e32 v0, 16, v3
	s_wait_loadcnt 0x0
	v_lshrrev_b32_e32 v6, 16, v5
	s_delay_alu instid0(VALU_DEP_1) | instskip(SKIP_1) | instid1(VALU_DEP_2)
	v_mul_f16_e32 v7, v0, v6
	v_mul_f16_e32 v6, v3, v6
	v_fmac_f16_e32 v7, v3, v5
	s_delay_alu instid0(VALU_DEP_2) | instskip(NEXT) | instid1(VALU_DEP_2)
	v_fma_f16 v0, v5, v0, -v6
	v_cvt_f32_f16_e32 v3, v7
	s_delay_alu instid0(VALU_DEP_2) | instskip(NEXT) | instid1(VALU_DEP_2)
	v_cvt_f32_f16_e32 v0, v0
	v_cvt_f64_f32_e32 v[5:6], v3
	s_delay_alu instid0(VALU_DEP_2) | instskip(NEXT) | instid1(VALU_DEP_2)
	v_cvt_f64_f32_e32 v[7:8], v0
	v_mul_f64_e32 v[5:6], s[10:11], v[5:6]
	s_delay_alu instid0(VALU_DEP_2) | instskip(NEXT) | instid1(VALU_DEP_2)
	v_mul_f64_e32 v[7:8], s[10:11], v[7:8]
	v_and_or_b32 v0, 0x1ff, v6, v5
	s_delay_alu instid0(VALU_DEP_2)
	v_and_or_b32 v7, 0x1ff, v8, v7
	v_lshrrev_b32_e32 v3, 8, v6
	v_bfe_u32 v5, v6, 20, 11
	v_lshrrev_b32_e32 v9, 8, v8
	v_cmp_ne_u32_e32 vcc_lo, 0, v0
	v_bfe_u32 v10, v8, 20, 11
	v_lshrrev_b32_e32 v6, 16, v6
	v_sub_nc_u32_e32 v11, 0x3f1, v5
	v_add_nc_u32_e32 v5, 0xfffffc10, v5
	s_wait_alu 0xfffd
	v_cndmask_b32_e64 v0, 0, 1, vcc_lo
	v_cmp_ne_u32_e32 vcc_lo, 0, v7
	s_delay_alu instid0(VALU_DEP_2) | instskip(SKIP_4) | instid1(VALU_DEP_3)
	v_and_or_b32 v0, 0xffe, v3, v0
	s_wait_alu 0xfffd
	v_cndmask_b32_e64 v7, 0, 1, vcc_lo
	v_sub_nc_u32_e32 v3, 0x3f1, v10
	v_add_nc_u32_e32 v10, 0xfffffc10, v10
	v_and_or_b32 v7, 0xffe, v9, v7
	v_med3_i32 v9, v11, 0, 13
	v_or_b32_e32 v11, 0x1000, v0
	v_med3_i32 v3, v3, 0, 13
	s_delay_alu instid0(VALU_DEP_4) | instskip(NEXT) | instid1(VALU_DEP_3)
	v_or_b32_e32 v12, 0x1000, v7
	v_lshrrev_b32_e32 v13, v9, v11
	s_delay_alu instid0(VALU_DEP_2) | instskip(NEXT) | instid1(VALU_DEP_2)
	v_lshrrev_b32_e32 v14, v3, v12
	v_lshlrev_b32_e32 v9, v9, v13
	s_delay_alu instid0(VALU_DEP_2) | instskip(NEXT) | instid1(VALU_DEP_2)
	v_lshlrev_b32_e32 v3, v3, v14
	v_cmp_ne_u32_e32 vcc_lo, v9, v11
	v_lshl_or_b32 v11, v5, 12, v0
	s_wait_alu 0xfffd
	v_cndmask_b32_e64 v9, 0, 1, vcc_lo
	v_cmp_ne_u32_e32 vcc_lo, v3, v12
	v_lshl_or_b32 v12, v10, 12, v7
	s_delay_alu instid0(VALU_DEP_3) | instskip(SKIP_3) | instid1(VALU_DEP_2)
	v_or_b32_e32 v9, v13, v9
	s_wait_alu 0xfffd
	v_cndmask_b32_e64 v3, 0, 1, vcc_lo
	v_cmp_gt_i32_e32 vcc_lo, 1, v5
	v_or_b32_e32 v3, v14, v3
	s_wait_alu 0xfffd
	v_cndmask_b32_e32 v9, v11, v9, vcc_lo
	v_cmp_gt_i32_e32 vcc_lo, 1, v10
	s_delay_alu instid0(VALU_DEP_2)
	v_and_b32_e32 v11, 7, v9
	s_wait_alu 0xfffd
	v_cndmask_b32_e32 v3, v12, v3, vcc_lo
	v_cmp_ne_u32_e32 vcc_lo, 0, v0
	v_lshrrev_b32_e32 v9, 2, v9
	v_cmp_eq_u32_e64 s0, 3, v11
	s_delay_alu instid0(VALU_DEP_4)
	v_and_b32_e32 v12, 7, v3
	s_wait_alu 0xfffd
	v_cndmask_b32_e64 v0, 0, 1, vcc_lo
	v_cmp_ne_u32_e32 vcc_lo, 0, v7
	v_lshrrev_b32_e32 v3, 2, v3
	v_cmp_lt_i32_e64 s1, 5, v12
	v_cmp_eq_u32_e64 s2, 3, v12
	s_wait_alu 0xfffd
	v_cndmask_b32_e64 v7, 0, 1, vcc_lo
	v_cmp_lt_i32_e32 vcc_lo, 5, v11
	v_lshl_or_b32 v0, v0, 9, 0x7c00
	s_delay_alu instid0(VALU_DEP_3)
	v_lshl_or_b32 v7, v7, 9, 0x7c00
	s_or_b32 vcc_lo, s0, vcc_lo
	s_wait_alu 0xfffe
	v_add_co_ci_u32_e32 v9, vcc_lo, 0, v9, vcc_lo
	s_or_b32 vcc_lo, s2, s1
	s_wait_alu 0xfffe
	v_add_co_ci_u32_e32 v3, vcc_lo, 0, v3, vcc_lo
	v_cmp_gt_i32_e32 vcc_lo, 31, v5
	s_wait_alu 0xfffd
	v_cndmask_b32_e32 v9, 0x7c00, v9, vcc_lo
	v_cmp_gt_i32_e32 vcc_lo, 31, v10
	s_wait_alu 0xfffd
	v_cndmask_b32_e32 v3, 0x7c00, v3, vcc_lo
	v_cmp_eq_u32_e32 vcc_lo, 0x40f, v5
	v_lshrrev_b32_e32 v5, 16, v8
	s_wait_alu 0xfffd
	v_cndmask_b32_e32 v0, v9, v0, vcc_lo
	v_cmp_eq_u32_e32 vcc_lo, 0x40f, v10
	s_delay_alu instid0(VALU_DEP_2) | instskip(SKIP_2) | instid1(VALU_DEP_1)
	v_and_or_b32 v0, 0x8000, v6, v0
	s_wait_alu 0xfffd
	v_cndmask_b32_e32 v3, v3, v7, vcc_lo
	v_and_or_b32 v3, 0x8000, v5, v3
	s_delay_alu instid0(VALU_DEP_3) | instskip(SKIP_3) | instid1(VALU_DEP_3)
	v_and_b32_e32 v5, 0xffff, v0
	v_add_co_u32 v0, vcc_lo, v1, s4
	s_wait_alu 0xfffd
	v_add_co_ci_u32_e32 v1, vcc_lo, s5, v2, vcc_lo
	v_lshl_or_b32 v2, v3, 16, v5
	v_lshrrev_b32_e32 v3, 16, v4
	global_store_b32 v[0:1], v2, off
	global_load_b32 v2, v37, s[8:9] offset:1848
	s_wait_loadcnt 0x0
	v_lshrrev_b32_e32 v5, 16, v2
	s_delay_alu instid0(VALU_DEP_1) | instskip(SKIP_1) | instid1(VALU_DEP_2)
	v_mul_f16_e32 v6, v3, v5
	v_mul_f16_e32 v5, v4, v5
	v_fmac_f16_e32 v6, v4, v2
	s_delay_alu instid0(VALU_DEP_2) | instskip(NEXT) | instid1(VALU_DEP_2)
	v_fma_f16 v2, v2, v3, -v5
	v_cvt_f32_f16_e32 v3, v6
	s_delay_alu instid0(VALU_DEP_2) | instskip(NEXT) | instid1(VALU_DEP_2)
	v_cvt_f32_f16_e32 v4, v2
	v_cvt_f64_f32_e32 v[2:3], v3
	s_delay_alu instid0(VALU_DEP_2) | instskip(NEXT) | instid1(VALU_DEP_2)
	v_cvt_f64_f32_e32 v[4:5], v4
	v_mul_f64_e32 v[2:3], s[10:11], v[2:3]
	s_delay_alu instid0(VALU_DEP_2) | instskip(NEXT) | instid1(VALU_DEP_2)
	v_mul_f64_e32 v[4:5], s[10:11], v[4:5]
	v_and_or_b32 v2, 0x1ff, v3, v2
	s_delay_alu instid0(VALU_DEP_2)
	v_and_or_b32 v4, 0x1ff, v5, v4
	v_lshrrev_b32_e32 v6, 8, v3
	v_bfe_u32 v7, v3, 20, 11
	v_lshrrev_b32_e32 v8, 8, v5
	v_cmp_ne_u32_e32 vcc_lo, 0, v2
	v_bfe_u32 v9, v5, 20, 11
	v_lshrrev_b32_e32 v3, 16, v3
	v_sub_nc_u32_e32 v10, 0x3f1, v7
	v_add_nc_u32_e32 v7, 0xfffffc10, v7
	s_wait_alu 0xfffd
	v_cndmask_b32_e64 v2, 0, 1, vcc_lo
	v_cmp_ne_u32_e32 vcc_lo, 0, v4
	v_lshrrev_b32_e32 v5, 16, v5
	s_delay_alu instid0(VALU_DEP_3) | instskip(SKIP_4) | instid1(VALU_DEP_3)
	v_and_or_b32 v2, 0xffe, v6, v2
	s_wait_alu 0xfffd
	v_cndmask_b32_e64 v4, 0, 1, vcc_lo
	v_sub_nc_u32_e32 v6, 0x3f1, v9
	v_add_nc_u32_e32 v9, 0xfffffc10, v9
	v_and_or_b32 v4, 0xffe, v8, v4
	v_med3_i32 v8, v10, 0, 13
	v_or_b32_e32 v10, 0x1000, v2
	v_med3_i32 v6, v6, 0, 13
	s_delay_alu instid0(VALU_DEP_4) | instskip(NEXT) | instid1(VALU_DEP_3)
	v_or_b32_e32 v11, 0x1000, v4
	v_lshrrev_b32_e32 v12, v8, v10
	s_delay_alu instid0(VALU_DEP_2) | instskip(NEXT) | instid1(VALU_DEP_2)
	v_lshrrev_b32_e32 v13, v6, v11
	v_lshlrev_b32_e32 v8, v8, v12
	s_delay_alu instid0(VALU_DEP_2) | instskip(NEXT) | instid1(VALU_DEP_2)
	v_lshlrev_b32_e32 v6, v6, v13
	v_cmp_ne_u32_e32 vcc_lo, v8, v10
	v_lshl_or_b32 v10, v7, 12, v2
	s_wait_alu 0xfffd
	v_cndmask_b32_e64 v8, 0, 1, vcc_lo
	v_cmp_ne_u32_e32 vcc_lo, v6, v11
	v_lshl_or_b32 v11, v9, 12, v4
	s_delay_alu instid0(VALU_DEP_3) | instskip(SKIP_3) | instid1(VALU_DEP_2)
	v_or_b32_e32 v8, v12, v8
	s_wait_alu 0xfffd
	v_cndmask_b32_e64 v6, 0, 1, vcc_lo
	v_cmp_gt_i32_e32 vcc_lo, 1, v7
	v_or_b32_e32 v6, v13, v6
	s_wait_alu 0xfffd
	v_cndmask_b32_e32 v8, v10, v8, vcc_lo
	v_cmp_gt_i32_e32 vcc_lo, 1, v9
	s_delay_alu instid0(VALU_DEP_2)
	v_and_b32_e32 v10, 7, v8
	s_wait_alu 0xfffd
	v_cndmask_b32_e32 v6, v11, v6, vcc_lo
	v_cmp_ne_u32_e32 vcc_lo, 0, v2
	v_lshrrev_b32_e32 v8, 2, v8
	v_cmp_eq_u32_e64 s0, 3, v10
	s_wait_alu 0xfffd
	v_cndmask_b32_e64 v2, 0, 1, vcc_lo
	v_cmp_ne_u32_e32 vcc_lo, 0, v4
	s_delay_alu instid0(VALU_DEP_2) | instskip(SKIP_3) | instid1(VALU_DEP_2)
	v_lshl_or_b32 v2, v2, 9, 0x7c00
	s_wait_alu 0xfffd
	v_cndmask_b32_e64 v4, 0, 1, vcc_lo
	v_cmp_lt_i32_e32 vcc_lo, 5, v10
	v_lshl_or_b32 v4, v4, 9, 0x7c00
	s_or_b32 vcc_lo, s0, vcc_lo
	s_wait_alu 0xfffe
	v_add_co_ci_u32_e32 v8, vcc_lo, 0, v8, vcc_lo
	v_and_b32_e32 v11, 7, v6
	v_lshrrev_b32_e32 v6, 2, v6
	s_delay_alu instid0(VALU_DEP_2) | instskip(SKIP_1) | instid1(VALU_DEP_1)
	v_cmp_lt_i32_e64 s1, 5, v11
	v_cmp_eq_u32_e64 s2, 3, v11
	s_or_b32 vcc_lo, s2, s1
	s_wait_alu 0xfffe
	v_add_co_ci_u32_e32 v6, vcc_lo, 0, v6, vcc_lo
	v_cmp_gt_i32_e32 vcc_lo, 31, v7
	s_wait_alu 0xfffd
	v_cndmask_b32_e32 v8, 0x7c00, v8, vcc_lo
	v_cmp_gt_i32_e32 vcc_lo, 31, v9
	s_wait_alu 0xfffd
	v_cndmask_b32_e32 v6, 0x7c00, v6, vcc_lo
	v_cmp_eq_u32_e32 vcc_lo, 0x40f, v7
	s_wait_alu 0xfffd
	v_cndmask_b32_e32 v2, v8, v2, vcc_lo
	v_cmp_eq_u32_e32 vcc_lo, 0x40f, v9
	s_delay_alu instid0(VALU_DEP_2)
	v_and_or_b32 v2, 0x8000, v3, v2
	s_wait_alu 0xfffd
	v_cndmask_b32_e32 v4, v6, v4, vcc_lo
	v_add_co_u32 v0, vcc_lo, v0, s4
	s_wait_alu 0xfffd
	v_add_co_ci_u32_e32 v1, vcc_lo, s5, v1, vcc_lo
	s_delay_alu instid0(VALU_DEP_3) | instskip(SKIP_1) | instid1(VALU_DEP_1)
	v_and_or_b32 v3, 0x8000, v5, v4
	v_and_b32_e32 v2, 0xffff, v2
	v_lshl_or_b32 v2, v3, 16, v2
	global_store_b32 v[0:1], v2, off
	global_load_b32 v4, v37, s[8:9] offset:1980
	v_add_nc_u32_e32 v2, 0x600, v40
	ds_load_2addr_b32 v[2:3], v2 offset0:111 offset1:144
	s_wait_dscnt 0x0
	v_lshrrev_b32_e32 v5, 16, v2
	s_wait_loadcnt 0x0
	v_lshrrev_b32_e32 v6, 16, v4
	s_delay_alu instid0(VALU_DEP_1) | instskip(SKIP_1) | instid1(VALU_DEP_2)
	v_mul_f16_e32 v7, v5, v6
	v_mul_f16_e32 v6, v2, v6
	v_fmac_f16_e32 v7, v2, v4
	s_delay_alu instid0(VALU_DEP_2) | instskip(NEXT) | instid1(VALU_DEP_2)
	v_fma_f16 v2, v4, v5, -v6
	v_cvt_f32_f16_e32 v4, v7
	s_delay_alu instid0(VALU_DEP_2) | instskip(NEXT) | instid1(VALU_DEP_2)
	v_cvt_f32_f16_e32 v2, v2
	v_cvt_f64_f32_e32 v[4:5], v4
	s_delay_alu instid0(VALU_DEP_2) | instskip(NEXT) | instid1(VALU_DEP_2)
	v_cvt_f64_f32_e32 v[6:7], v2
	v_mul_f64_e32 v[4:5], s[10:11], v[4:5]
	s_delay_alu instid0(VALU_DEP_2) | instskip(NEXT) | instid1(VALU_DEP_2)
	v_mul_f64_e32 v[6:7], s[10:11], v[6:7]
	v_and_or_b32 v2, 0x1ff, v5, v4
	s_delay_alu instid0(VALU_DEP_2)
	v_and_or_b32 v6, 0x1ff, v7, v6
	v_lshrrev_b32_e32 v4, 8, v5
	v_bfe_u32 v8, v5, 20, 11
	v_lshrrev_b32_e32 v9, 8, v7
	v_cmp_ne_u32_e32 vcc_lo, 0, v2
	v_bfe_u32 v10, v7, 20, 11
	v_lshrrev_b32_e32 v5, 16, v5
	v_sub_nc_u32_e32 v11, 0x3f1, v8
	v_add_nc_u32_e32 v8, 0xfffffc10, v8
	s_wait_alu 0xfffd
	v_cndmask_b32_e64 v2, 0, 1, vcc_lo
	v_cmp_ne_u32_e32 vcc_lo, 0, v6
	v_lshrrev_b32_e32 v7, 16, v7
	s_delay_alu instid0(VALU_DEP_3) | instskip(SKIP_4) | instid1(VALU_DEP_3)
	v_and_or_b32 v2, 0xffe, v4, v2
	s_wait_alu 0xfffd
	v_cndmask_b32_e64 v6, 0, 1, vcc_lo
	v_sub_nc_u32_e32 v4, 0x3f1, v10
	v_add_nc_u32_e32 v10, 0xfffffc10, v10
	v_and_or_b32 v6, 0xffe, v9, v6
	v_med3_i32 v9, v11, 0, 13
	v_or_b32_e32 v11, 0x1000, v2
	v_med3_i32 v4, v4, 0, 13
	s_delay_alu instid0(VALU_DEP_4) | instskip(NEXT) | instid1(VALU_DEP_3)
	v_or_b32_e32 v12, 0x1000, v6
	v_lshrrev_b32_e32 v13, v9, v11
	s_delay_alu instid0(VALU_DEP_2) | instskip(NEXT) | instid1(VALU_DEP_2)
	v_lshrrev_b32_e32 v14, v4, v12
	v_lshlrev_b32_e32 v9, v9, v13
	s_delay_alu instid0(VALU_DEP_2) | instskip(NEXT) | instid1(VALU_DEP_2)
	v_lshlrev_b32_e32 v4, v4, v14
	v_cmp_ne_u32_e32 vcc_lo, v9, v11
	v_lshl_or_b32 v11, v8, 12, v2
	s_wait_alu 0xfffd
	v_cndmask_b32_e64 v9, 0, 1, vcc_lo
	v_cmp_ne_u32_e32 vcc_lo, v4, v12
	v_lshl_or_b32 v12, v10, 12, v6
	s_delay_alu instid0(VALU_DEP_3) | instskip(SKIP_3) | instid1(VALU_DEP_2)
	v_or_b32_e32 v9, v13, v9
	s_wait_alu 0xfffd
	v_cndmask_b32_e64 v4, 0, 1, vcc_lo
	v_cmp_gt_i32_e32 vcc_lo, 1, v8
	v_or_b32_e32 v4, v14, v4
	s_wait_alu 0xfffd
	v_cndmask_b32_e32 v9, v11, v9, vcc_lo
	v_cmp_gt_i32_e32 vcc_lo, 1, v10
	s_wait_alu 0xfffd
	s_delay_alu instid0(VALU_DEP_2) | instskip(SKIP_2) | instid1(VALU_DEP_3)
	v_dual_cndmask_b32 v4, v12, v4 :: v_dual_and_b32 v11, 7, v9
	v_cmp_ne_u32_e32 vcc_lo, 0, v2
	v_lshrrev_b32_e32 v9, 2, v9
	v_cmp_eq_u32_e64 s0, 3, v11
	s_delay_alu instid0(VALU_DEP_4)
	v_and_b32_e32 v12, 7, v4
	s_wait_alu 0xfffd
	v_cndmask_b32_e64 v2, 0, 1, vcc_lo
	v_cmp_ne_u32_e32 vcc_lo, 0, v6
	v_lshrrev_b32_e32 v4, 2, v4
	v_cmp_lt_i32_e64 s1, 5, v12
	v_cmp_eq_u32_e64 s2, 3, v12
	s_wait_alu 0xfffd
	v_cndmask_b32_e64 v6, 0, 1, vcc_lo
	v_cmp_lt_i32_e32 vcc_lo, 5, v11
	v_lshl_or_b32 v2, v2, 9, 0x7c00
	s_delay_alu instid0(VALU_DEP_3)
	v_lshl_or_b32 v6, v6, 9, 0x7c00
	s_or_b32 vcc_lo, s0, vcc_lo
	s_wait_alu 0xfffe
	v_add_co_ci_u32_e32 v9, vcc_lo, 0, v9, vcc_lo
	s_or_b32 vcc_lo, s2, s1
	s_wait_alu 0xfffe
	v_add_co_ci_u32_e32 v4, vcc_lo, 0, v4, vcc_lo
	v_cmp_gt_i32_e32 vcc_lo, 31, v8
	s_wait_alu 0xfffd
	v_cndmask_b32_e32 v9, 0x7c00, v9, vcc_lo
	v_cmp_gt_i32_e32 vcc_lo, 31, v10
	s_wait_alu 0xfffd
	v_cndmask_b32_e32 v4, 0x7c00, v4, vcc_lo
	v_cmp_eq_u32_e32 vcc_lo, 0x40f, v8
	s_wait_alu 0xfffd
	v_cndmask_b32_e32 v2, v9, v2, vcc_lo
	v_cmp_eq_u32_e32 vcc_lo, 0x40f, v10
	s_delay_alu instid0(VALU_DEP_2)
	v_and_or_b32 v2, 0x8000, v5, v2
	s_wait_alu 0xfffd
	v_cndmask_b32_e32 v4, v4, v6, vcc_lo
	v_add_co_u32 v0, vcc_lo, v0, s4
	s_wait_alu 0xfffd
	v_add_co_ci_u32_e32 v1, vcc_lo, s5, v1, vcc_lo
	s_delay_alu instid0(VALU_DEP_3) | instskip(SKIP_1) | instid1(VALU_DEP_1)
	v_and_or_b32 v4, 0x8000, v7, v4
	v_and_b32_e32 v2, 0xffff, v2
	v_lshl_or_b32 v2, v4, 16, v2
	v_lshrrev_b32_e32 v4, 16, v3
	global_store_b32 v[0:1], v2, off
	global_load_b32 v2, v37, s[8:9] offset:2112
	s_wait_loadcnt 0x0
	v_lshrrev_b32_e32 v5, 16, v2
	s_delay_alu instid0(VALU_DEP_1) | instskip(SKIP_1) | instid1(VALU_DEP_2)
	v_mul_f16_e32 v6, v4, v5
	v_mul_f16_e32 v5, v3, v5
	v_fmac_f16_e32 v6, v3, v2
	s_delay_alu instid0(VALU_DEP_2) | instskip(NEXT) | instid1(VALU_DEP_2)
	v_fma_f16 v2, v2, v4, -v5
	v_cvt_f32_f16_e32 v3, v6
	s_delay_alu instid0(VALU_DEP_2) | instskip(NEXT) | instid1(VALU_DEP_2)
	v_cvt_f32_f16_e32 v4, v2
	v_cvt_f64_f32_e32 v[2:3], v3
	s_delay_alu instid0(VALU_DEP_2) | instskip(NEXT) | instid1(VALU_DEP_2)
	v_cvt_f64_f32_e32 v[4:5], v4
	v_mul_f64_e32 v[2:3], s[10:11], v[2:3]
	s_delay_alu instid0(VALU_DEP_2) | instskip(NEXT) | instid1(VALU_DEP_2)
	v_mul_f64_e32 v[4:5], s[10:11], v[4:5]
	v_and_or_b32 v2, 0x1ff, v3, v2
	s_delay_alu instid0(VALU_DEP_2)
	v_and_or_b32 v4, 0x1ff, v5, v4
	v_lshrrev_b32_e32 v6, 8, v3
	v_bfe_u32 v7, v3, 20, 11
	v_lshrrev_b32_e32 v8, 8, v5
	v_cmp_ne_u32_e32 vcc_lo, 0, v2
	v_bfe_u32 v9, v5, 20, 11
	v_lshrrev_b32_e32 v3, 16, v3
	v_sub_nc_u32_e32 v10, 0x3f1, v7
	v_add_nc_u32_e32 v7, 0xfffffc10, v7
	s_wait_alu 0xfffd
	v_cndmask_b32_e64 v2, 0, 1, vcc_lo
	v_cmp_ne_u32_e32 vcc_lo, 0, v4
	v_lshrrev_b32_e32 v5, 16, v5
	s_delay_alu instid0(VALU_DEP_3) | instskip(SKIP_4) | instid1(VALU_DEP_3)
	v_and_or_b32 v2, 0xffe, v6, v2
	s_wait_alu 0xfffd
	v_cndmask_b32_e64 v4, 0, 1, vcc_lo
	v_sub_nc_u32_e32 v6, 0x3f1, v9
	v_add_nc_u32_e32 v9, 0xfffffc10, v9
	v_and_or_b32 v4, 0xffe, v8, v4
	v_med3_i32 v8, v10, 0, 13
	v_or_b32_e32 v10, 0x1000, v2
	v_med3_i32 v6, v6, 0, 13
	s_delay_alu instid0(VALU_DEP_4) | instskip(NEXT) | instid1(VALU_DEP_3)
	v_or_b32_e32 v11, 0x1000, v4
	v_lshrrev_b32_e32 v12, v8, v10
	s_delay_alu instid0(VALU_DEP_2) | instskip(NEXT) | instid1(VALU_DEP_2)
	v_lshrrev_b32_e32 v13, v6, v11
	v_lshlrev_b32_e32 v8, v8, v12
	s_delay_alu instid0(VALU_DEP_2) | instskip(NEXT) | instid1(VALU_DEP_2)
	v_lshlrev_b32_e32 v6, v6, v13
	v_cmp_ne_u32_e32 vcc_lo, v8, v10
	v_lshl_or_b32 v10, v7, 12, v2
	s_wait_alu 0xfffd
	v_cndmask_b32_e64 v8, 0, 1, vcc_lo
	v_cmp_ne_u32_e32 vcc_lo, v6, v11
	v_lshl_or_b32 v11, v9, 12, v4
	s_delay_alu instid0(VALU_DEP_3) | instskip(SKIP_3) | instid1(VALU_DEP_2)
	v_or_b32_e32 v8, v12, v8
	s_wait_alu 0xfffd
	v_cndmask_b32_e64 v6, 0, 1, vcc_lo
	v_cmp_gt_i32_e32 vcc_lo, 1, v7
	v_or_b32_e32 v6, v13, v6
	s_wait_alu 0xfffd
	v_cndmask_b32_e32 v8, v10, v8, vcc_lo
	v_cmp_gt_i32_e32 vcc_lo, 1, v9
	s_wait_alu 0xfffd
	v_cndmask_b32_e32 v6, v11, v6, vcc_lo
	v_cmp_ne_u32_e32 vcc_lo, 0, v2
	s_delay_alu instid0(VALU_DEP_2)
	v_and_b32_e32 v11, 7, v6
	s_wait_alu 0xfffd
	v_cndmask_b32_e64 v2, 0, 1, vcc_lo
	v_and_b32_e32 v10, 7, v8
	v_cmp_ne_u32_e32 vcc_lo, 0, v4
	v_lshrrev_b32_e32 v8, 2, v8
	v_cmp_lt_i32_e64 s1, 5, v11
	v_cmp_eq_u32_e64 s2, 3, v11
	v_cmp_eq_u32_e64 s0, 3, v10
	s_wait_alu 0xfffd
	v_cndmask_b32_e64 v4, 0, 1, vcc_lo
	v_cmp_lt_i32_e32 vcc_lo, 5, v10
	v_lshrrev_b32_e32 v6, 2, v6
	v_lshl_or_b32 v2, v2, 9, 0x7c00
	s_delay_alu instid0(VALU_DEP_4)
	v_lshl_or_b32 v4, v4, 9, 0x7c00
	s_or_b32 vcc_lo, s0, vcc_lo
	s_wait_alu 0xfffe
	v_add_co_ci_u32_e32 v8, vcc_lo, 0, v8, vcc_lo
	s_or_b32 vcc_lo, s2, s1
	s_wait_alu 0xfffe
	v_add_co_ci_u32_e32 v6, vcc_lo, 0, v6, vcc_lo
	v_cmp_gt_i32_e32 vcc_lo, 31, v7
	s_wait_alu 0xfffd
	v_cndmask_b32_e32 v8, 0x7c00, v8, vcc_lo
	v_cmp_gt_i32_e32 vcc_lo, 31, v9
	s_wait_alu 0xfffd
	v_cndmask_b32_e32 v6, 0x7c00, v6, vcc_lo
	v_cmp_eq_u32_e32 vcc_lo, 0x40f, v7
	s_wait_alu 0xfffd
	v_cndmask_b32_e32 v2, v8, v2, vcc_lo
	v_cmp_eq_u32_e32 vcc_lo, 0x40f, v9
	s_delay_alu instid0(VALU_DEP_2)
	v_and_or_b32 v2, 0x8000, v3, v2
	s_wait_alu 0xfffd
	v_cndmask_b32_e32 v4, v6, v4, vcc_lo
	v_add_co_u32 v0, vcc_lo, v0, s4
	s_wait_alu 0xfffd
	v_add_co_ci_u32_e32 v1, vcc_lo, s5, v1, vcc_lo
	s_delay_alu instid0(VALU_DEP_3) | instskip(SKIP_1) | instid1(VALU_DEP_1)
	v_and_or_b32 v3, 0x8000, v5, v4
	v_and_b32_e32 v2, 0xffff, v2
	v_lshl_or_b32 v2, v3, 16, v2
	global_store_b32 v[0:1], v2, off
.LBB0_23:
	s_nop 0
	s_sendmsg sendmsg(MSG_DEALLOC_VGPRS)
	s_endpgm
	.section	.rodata,"a",@progbits
	.p2align	6, 0x0
	.amdhsa_kernel bluestein_single_back_len561_dim1_half_op_CI_CI
		.amdhsa_group_segment_fixed_size 11220
		.amdhsa_private_segment_fixed_size 0
		.amdhsa_kernarg_size 104
		.amdhsa_user_sgpr_count 2
		.amdhsa_user_sgpr_dispatch_ptr 0
		.amdhsa_user_sgpr_queue_ptr 0
		.amdhsa_user_sgpr_kernarg_segment_ptr 1
		.amdhsa_user_sgpr_dispatch_id 0
		.amdhsa_user_sgpr_private_segment_size 0
		.amdhsa_wavefront_size32 1
		.amdhsa_uses_dynamic_stack 0
		.amdhsa_enable_private_segment 0
		.amdhsa_system_sgpr_workgroup_id_x 1
		.amdhsa_system_sgpr_workgroup_id_y 0
		.amdhsa_system_sgpr_workgroup_id_z 0
		.amdhsa_system_sgpr_workgroup_info 0
		.amdhsa_system_vgpr_workitem_id 0
		.amdhsa_next_free_vgpr 205
		.amdhsa_next_free_sgpr 14
		.amdhsa_reserve_vcc 1
		.amdhsa_float_round_mode_32 0
		.amdhsa_float_round_mode_16_64 0
		.amdhsa_float_denorm_mode_32 3
		.amdhsa_float_denorm_mode_16_64 3
		.amdhsa_fp16_overflow 0
		.amdhsa_workgroup_processor_mode 1
		.amdhsa_memory_ordered 1
		.amdhsa_forward_progress 0
		.amdhsa_round_robin_scheduling 0
		.amdhsa_exception_fp_ieee_invalid_op 0
		.amdhsa_exception_fp_denorm_src 0
		.amdhsa_exception_fp_ieee_div_zero 0
		.amdhsa_exception_fp_ieee_overflow 0
		.amdhsa_exception_fp_ieee_underflow 0
		.amdhsa_exception_fp_ieee_inexact 0
		.amdhsa_exception_int_div_zero 0
	.end_amdhsa_kernel
	.text
.Lfunc_end0:
	.size	bluestein_single_back_len561_dim1_half_op_CI_CI, .Lfunc_end0-bluestein_single_back_len561_dim1_half_op_CI_CI
                                        ; -- End function
	.section	.AMDGPU.csdata,"",@progbits
; Kernel info:
; codeLenInByte = 36400
; NumSgprs: 16
; NumVgprs: 205
; ScratchSize: 0
; MemoryBound: 0
; FloatMode: 240
; IeeeMode: 1
; LDSByteSize: 11220 bytes/workgroup (compile time only)
; SGPRBlocks: 1
; VGPRBlocks: 25
; NumSGPRsForWavesPerEU: 16
; NumVGPRsForWavesPerEU: 205
; Occupancy: 7
; WaveLimiterHint : 1
; COMPUTE_PGM_RSRC2:SCRATCH_EN: 0
; COMPUTE_PGM_RSRC2:USER_SGPR: 2
; COMPUTE_PGM_RSRC2:TRAP_HANDLER: 0
; COMPUTE_PGM_RSRC2:TGID_X_EN: 1
; COMPUTE_PGM_RSRC2:TGID_Y_EN: 0
; COMPUTE_PGM_RSRC2:TGID_Z_EN: 0
; COMPUTE_PGM_RSRC2:TIDIG_COMP_CNT: 0
	.text
	.p2alignl 7, 3214868480
	.fill 96, 4, 3214868480
	.type	__hip_cuid_bc40960b7fdbab1a,@object ; @__hip_cuid_bc40960b7fdbab1a
	.section	.bss,"aw",@nobits
	.globl	__hip_cuid_bc40960b7fdbab1a
__hip_cuid_bc40960b7fdbab1a:
	.byte	0                               ; 0x0
	.size	__hip_cuid_bc40960b7fdbab1a, 1

	.ident	"AMD clang version 19.0.0git (https://github.com/RadeonOpenCompute/llvm-project roc-6.4.0 25133 c7fe45cf4b819c5991fe208aaa96edf142730f1d)"
	.section	".note.GNU-stack","",@progbits
	.addrsig
	.addrsig_sym __hip_cuid_bc40960b7fdbab1a
	.amdgpu_metadata
---
amdhsa.kernels:
  - .args:
      - .actual_access:  read_only
        .address_space:  global
        .offset:         0
        .size:           8
        .value_kind:     global_buffer
      - .actual_access:  read_only
        .address_space:  global
        .offset:         8
        .size:           8
        .value_kind:     global_buffer
      - .actual_access:  read_only
        .address_space:  global
        .offset:         16
        .size:           8
        .value_kind:     global_buffer
      - .actual_access:  read_only
        .address_space:  global
        .offset:         24
        .size:           8
        .value_kind:     global_buffer
      - .actual_access:  read_only
        .address_space:  global
        .offset:         32
        .size:           8
        .value_kind:     global_buffer
      - .offset:         40
        .size:           8
        .value_kind:     by_value
      - .address_space:  global
        .offset:         48
        .size:           8
        .value_kind:     global_buffer
      - .address_space:  global
        .offset:         56
        .size:           8
        .value_kind:     global_buffer
      - .address_space:  global
        .offset:         64
        .size:           8
        .value_kind:     global_buffer
      - .address_space:  global
        .offset:         72
        .size:           8
        .value_kind:     global_buffer
      - .offset:         80
        .size:           4
        .value_kind:     by_value
      - .address_space:  global
        .offset:         88
        .size:           8
        .value_kind:     global_buffer
      - .address_space:  global
        .offset:         96
        .size:           8
        .value_kind:     global_buffer
    .group_segment_fixed_size: 11220
    .kernarg_segment_align: 8
    .kernarg_segment_size: 104
    .language:       OpenCL C
    .language_version:
      - 2
      - 0
    .max_flat_workgroup_size: 255
    .name:           bluestein_single_back_len561_dim1_half_op_CI_CI
    .private_segment_fixed_size: 0
    .sgpr_count:     16
    .sgpr_spill_count: 0
    .symbol:         bluestein_single_back_len561_dim1_half_op_CI_CI.kd
    .uniform_work_group_size: 1
    .uses_dynamic_stack: false
    .vgpr_count:     205
    .vgpr_spill_count: 0
    .wavefront_size: 32
    .workgroup_processor_mode: 1
amdhsa.target:   amdgcn-amd-amdhsa--gfx1201
amdhsa.version:
  - 1
  - 2
...

	.end_amdgpu_metadata
